;; amdgpu-corpus repo=ROCm/rocFFT kind=compiled arch=gfx950 opt=O3
	.text
	.amdgcn_target "amdgcn-amd-amdhsa--gfx950"
	.amdhsa_code_object_version 6
	.protected	bluestein_single_fwd_len833_dim1_sp_op_CI_CI ; -- Begin function bluestein_single_fwd_len833_dim1_sp_op_CI_CI
	.globl	bluestein_single_fwd_len833_dim1_sp_op_CI_CI
	.p2align	8
	.type	bluestein_single_fwd_len833_dim1_sp_op_CI_CI,@function
bluestein_single_fwd_len833_dim1_sp_op_CI_CI: ; @bluestein_single_fwd_len833_dim1_sp_op_CI_CI
; %bb.0:
	s_load_dwordx4 s[8:11], s[0:1], 0x28
	v_mul_u32_u24_e32 v1, 0x227, v0
	v_add_u32_sdwa v2, s2, v1 dst_sel:DWORD dst_unused:UNUSED_PAD src0_sel:DWORD src1_sel:WORD_1
	v_mov_b32_e32 v3, 0
	v_accvgpr_write_b32 a0, v2
	s_waitcnt lgkmcnt(0)
	v_cmp_gt_u64_e32 vcc, s[8:9], v[2:3]
	s_and_saveexec_b64 s[2:3], vcc
	s_cbranch_execz .LBB0_15
; %bb.1:
	s_load_dwordx2 s[8:9], s[0:1], 0x0
	s_load_dwordx2 s[12:13], s[0:1], 0x38
	s_movk_i32 s2, 0x77
	v_mul_lo_u16_sdwa v1, v1, s2 dst_sel:DWORD dst_unused:UNUSED_PAD src0_sel:WORD_1 src1_sel:DWORD
	v_sub_u16_e32 v59, v0, v1
	v_cmp_gt_u16_e64 s[2:3], 49, v59
	v_lshlrev_b32_e32 v56, 3, v59
	s_and_saveexec_b64 s[14:15], s[2:3]
	s_cbranch_execz .LBB0_3
; %bb.2:
	s_load_dwordx2 s[4:5], s[0:1], 0x18
	v_accvgpr_read_b32 v10, a0
	v_mov_b32_e32 v0, s10
	v_mov_b32_e32 v1, s11
	;; [unrolled: 1-line block ×3, first 2 shown]
	s_waitcnt lgkmcnt(0)
	s_load_dwordx4 s[4:7], s[4:5], 0x0
	v_mov_b32_e32 v57, 0
	s_waitcnt lgkmcnt(0)
	v_mad_u64_u32 v[2:3], s[10:11], s6, v10, 0
	v_mad_u64_u32 v[4:5], s[10:11], s4, v59, 0
	v_mov_b32_e32 v6, v3
	v_mov_b32_e32 v8, v5
	v_mad_u64_u32 v[6:7], s[6:7], s7, v10, v[6:7]
	v_mov_b32_e32 v3, v6
	v_mad_u64_u32 v[6:7], s[6:7], s5, v59, v[8:9]
	v_mov_b32_e32 v5, v6
	v_lshl_add_u64 v[0:1], v[2:3], 3, v[0:1]
	v_lshl_add_u64 v[2:3], v[4:5], 3, v[0:1]
	v_mad_u64_u32 v[8:9], s[6:7], s4, v58, v[2:3]
	s_mulk_i32 s5, 0x188
	v_add_u32_e32 v9, s5, v9
	v_mad_u64_u32 v[14:15], s[6:7], s4, v58, v[8:9]
	v_add_u32_e32 v15, s5, v15
	v_mad_u64_u32 v[16:17], s[6:7], s4, v58, v[14:15]
	v_add_u32_e32 v17, s5, v17
	global_load_dwordx2 v[0:1], v[2:3], off
	s_nop 0
	global_load_dwordx2 v[2:3], v56, s[8:9]
	global_load_dwordx2 v[4:5], v56, s[8:9] offset:392
	global_load_dwordx2 v[6:7], v[8:9], off
	global_load_dwordx2 v[10:11], v56, s[8:9] offset:784
	s_nop 0
	global_load_dwordx2 v[8:9], v56, s[8:9] offset:1176
	global_load_dwordx2 v[12:13], v56, s[8:9] offset:1568
	;; [unrolled: 1-line block ×7, first 2 shown]
	global_load_dwordx2 v[28:29], v[14:15], off
	global_load_dwordx2 v[30:31], v56, s[8:9] offset:3920
	global_load_dwordx2 v[32:33], v[16:17], off
	v_mad_u64_u32 v[16:17], s[6:7], s4, v58, v[16:17]
	v_add_u32_e32 v17, s5, v17
	global_load_dwordx2 v[34:35], v[16:17], off
	v_mad_u64_u32 v[16:17], s[6:7], s4, v58, v[16:17]
	v_add_u32_e32 v17, s5, v17
	global_load_dwordx2 v[36:37], v[16:17], off
	v_mad_u64_u32 v[16:17], s[6:7], s4, v58, v[16:17]
	v_add_u32_e32 v17, s5, v17
	global_load_dwordx2 v[38:39], v[16:17], off
	v_mad_u64_u32 v[16:17], s[6:7], s4, v58, v[16:17]
	v_add_u32_e32 v17, s5, v17
	global_load_dwordx2 v[40:41], v[16:17], off
	v_mad_u64_u32 v[16:17], s[6:7], s4, v58, v[16:17]
	v_add_u32_e32 v17, s5, v17
	global_load_dwordx2 v[42:43], v[16:17], off
	v_mad_u64_u32 v[16:17], s[6:7], s4, v58, v[16:17]
	v_add_u32_e32 v17, s5, v17
	global_load_dwordx2 v[44:45], v[16:17], off
	v_mad_u64_u32 v[16:17], s[6:7], s4, v58, v[16:17]
	v_add_u32_e32 v17, s5, v17
	s_movk_i32 s10, 0x1000
	v_lshl_add_u64 v[14:15], s[8:9], 0, v[56:57]
	global_load_dwordx2 v[46:47], v[16:17], off
	v_mad_u64_u32 v[16:17], s[6:7], s4, v58, v[16:17]
	v_add_co_u32_e32 v14, vcc, s10, v14
	v_add_u32_e32 v17, s5, v17
	s_nop 0
	v_addc_co_u32_e32 v15, vcc, 0, v15, vcc
	global_load_dwordx2 v[48:49], v[16:17], off
	global_load_dwordx2 v[50:51], v[14:15], off offset:216
	v_mad_u64_u32 v[16:17], s[6:7], s4, v58, v[16:17]
	v_add_u32_e32 v17, s5, v17
	global_load_dwordx2 v[52:53], v[16:17], off
	global_load_dwordx2 v[54:55], v[14:15], off offset:608
	v_mad_u64_u32 v[16:17], s[6:7], s4, v58, v[16:17]
	v_add_u32_e32 v17, s5, v17
	global_load_dwordx2 v[60:61], v[16:17], off
	global_load_dwordx2 v[62:63], v[14:15], off offset:1000
	global_load_dwordx2 v[64:65], v[14:15], off offset:1784
	v_mad_u64_u32 v[16:17], s[6:7], s4, v58, v[16:17]
	v_add_u32_e32 v17, s5, v17
	global_load_dwordx2 v[66:67], v[16:17], off
	global_load_dwordx2 v[68:69], v[14:15], off offset:1392
	v_mad_u64_u32 v[16:17], s[6:7], s4, v58, v[16:17]
	v_add_u32_e32 v17, s5, v17
	global_load_dwordx2 v[70:71], v[16:17], off
	global_load_dwordx2 v[72:73], v[14:15], off offset:2176
	v_mad_u64_u32 v[14:15], s[6:7], s4, v58, v[16:17]
	v_add_u32_e32 v15, s5, v15
	global_load_dwordx2 v[14:15], v[14:15], off
	s_waitcnt vmcnt(32)
	v_mul_f32_e32 v16, v0, v3
	v_fma_f32 v17, v1, v2, -v16
	v_mul_f32_e32 v16, v1, v3
	v_fmac_f32_e32 v16, v0, v2
	s_waitcnt vmcnt(30)
	v_mul_f32_e32 v0, v6, v5
	v_fma_f32 v1, v7, v4, -v0
	v_mul_f32_e32 v0, v7, v5
	v_fmac_f32_e32 v0, v6, v4
	ds_write2_b64 v56, v[16:17], v[0:1] offset1:49
	s_waitcnt vmcnt(21)
	v_mul_f32_e32 v0, v29, v11
	v_mul_f32_e32 v1, v28, v11
	s_waitcnt vmcnt(19)
	v_mul_f32_e32 v2, v33, v9
	v_mul_f32_e32 v3, v32, v9
	v_fmac_f32_e32 v0, v28, v10
	v_fma_f32 v1, v29, v10, -v1
	v_fmac_f32_e32 v2, v32, v8
	v_fma_f32 v3, v33, v8, -v3
	ds_write2_b64 v56, v[0:1], v[2:3] offset0:98 offset1:147
	s_waitcnt vmcnt(18)
	v_mul_f32_e32 v0, v35, v13
	v_mul_f32_e32 v1, v34, v13
	s_waitcnt vmcnt(17)
	v_mul_f32_e32 v2, v37, v19
	v_mul_f32_e32 v3, v36, v19
	v_fmac_f32_e32 v0, v34, v12
	v_fma_f32 v1, v35, v12, -v1
	v_fmac_f32_e32 v2, v36, v18
	v_fma_f32 v3, v37, v18, -v3
	ds_write2_b64 v56, v[0:1], v[2:3] offset0:196 offset1:245
	s_waitcnt vmcnt(16)
	v_mul_f32_e32 v0, v39, v21
	v_mul_f32_e32 v1, v38, v21
	s_waitcnt vmcnt(15)
	v_mul_f32_e32 v2, v41, v23
	v_mul_f32_e32 v3, v40, v23
	v_fmac_f32_e32 v0, v38, v20
	v_fma_f32 v1, v39, v20, -v1
	v_fmac_f32_e32 v2, v40, v22
	v_fma_f32 v3, v41, v22, -v3
	v_add_u32_e32 v4, 0x800, v56
	ds_write2_b64 v4, v[0:1], v[2:3] offset0:38 offset1:87
	s_waitcnt vmcnt(14)
	v_mul_f32_e32 v0, v43, v25
	v_mul_f32_e32 v1, v42, v25
	s_waitcnt vmcnt(13)
	v_mul_f32_e32 v2, v45, v27
	v_mul_f32_e32 v3, v44, v27
	v_fmac_f32_e32 v0, v42, v24
	v_fma_f32 v1, v43, v24, -v1
	v_fmac_f32_e32 v2, v44, v26
	v_fma_f32 v3, v45, v26, -v3
	ds_write2_b64 v4, v[0:1], v[2:3] offset0:136 offset1:185
	s_waitcnt vmcnt(12)
	v_mul_f32_e32 v0, v47, v31
	v_mul_f32_e32 v1, v46, v31
	s_waitcnt vmcnt(10)
	v_mul_f32_e32 v2, v49, v51
	v_mul_f32_e32 v3, v48, v51
	v_fmac_f32_e32 v0, v46, v30
	v_fma_f32 v1, v47, v30, -v1
	v_fmac_f32_e32 v2, v48, v50
	v_fma_f32 v3, v49, v50, -v3
	v_add_u32_e32 v4, 0xc00, v56
	ds_write2_b64 v4, v[0:1], v[2:3] offset0:106 offset1:155
	s_waitcnt vmcnt(8)
	v_mul_f32_e32 v0, v53, v55
	v_mul_f32_e32 v1, v52, v55
	s_waitcnt vmcnt(6)
	v_mul_f32_e32 v2, v61, v63
	v_mul_f32_e32 v3, v60, v63
	v_fmac_f32_e32 v0, v52, v54
	v_fma_f32 v1, v53, v54, -v1
	v_fmac_f32_e32 v2, v60, v62
	v_fma_f32 v3, v61, v62, -v3
	v_add_u32_e32 v4, 0x1000, v56
	ds_write2_b64 v4, v[0:1], v[2:3] offset0:76 offset1:125
	s_waitcnt vmcnt(3)
	v_mul_f32_e32 v0, v67, v69
	v_mul_f32_e32 v1, v66, v69
	s_waitcnt vmcnt(2)
	v_mul_f32_e32 v2, v71, v65
	v_mul_f32_e32 v3, v70, v65
	v_fmac_f32_e32 v0, v66, v68
	v_fma_f32 v1, v67, v68, -v1
	v_fmac_f32_e32 v2, v70, v64
	v_fma_f32 v3, v71, v64, -v3
	ds_write2_b64 v4, v[0:1], v[2:3] offset0:174 offset1:223
	s_waitcnt vmcnt(0)
	v_mul_f32_e32 v0, v15, v73
	v_mul_f32_e32 v1, v14, v73
	v_fmac_f32_e32 v0, v14, v72
	v_fma_f32 v1, v15, v72, -v1
	ds_write_b64 v56, v[0:1] offset:6272
.LBB0_3:
	s_or_b64 exec, exec, s[14:15]
	s_load_dwordx2 s[4:5], s[0:1], 0x20
	s_load_dwordx2 s[10:11], s[0:1], 0x8
	v_accvgpr_write_b32 a1, v59
	v_mov_b32_e32 v0, 0
	v_mov_b32_e32 v1, 0
	s_waitcnt lgkmcnt(0)
	s_barrier
	s_waitcnt lgkmcnt(0)
                                        ; implicit-def: $vgpr6
                                        ; implicit-def: $vgpr16
                                        ; implicit-def: $vgpr10
                                        ; implicit-def: $vgpr24
                                        ; implicit-def: $vgpr22
                                        ; implicit-def: $vgpr44
                                        ; implicit-def: $vgpr50
                                        ; implicit-def: $vgpr42
	s_and_saveexec_b64 s[0:1], s[2:3]
	s_cbranch_execz .LBB0_5
; %bb.4:
	v_add_u32_e32 v4, 0x800, v56
	v_add_u32_e32 v12, 0xc00, v56
	ds_read2_b64 v[0:3], v56 offset1:49
	ds_read2_b64 v[40:43], v56 offset0:98 offset1:147
	ds_read2_b64 v[20:23], v56 offset0:196 offset1:245
	;; [unrolled: 1-line block ×5, first 2 shown]
	v_add_u32_e32 v12, 0x1000, v56
	ds_read2_b64 v[24:27], v12 offset0:76 offset1:125
	ds_read2_b64 v[48:51], v12 offset0:174 offset1:223
	ds_read_b64 v[44:45], v56 offset:6272
.LBB0_5:
	s_or_b64 exec, exec, s[0:1]
	s_mov_b32 s6, 0xbf2c7751
	s_waitcnt lgkmcnt(0)
	v_pk_add_f32 v[46:47], v[44:45], v[2:3]
	v_pk_add_f32 v[12:13], v[2:3], v[44:45] neg_lo:[0,1] neg_hi:[0,1]
	s_mov_b32 s7, 0x3f3d2fb0
	v_mov_b32_e32 v63, v47
	v_mov_b32_e32 v47, v12
	s_mov_b32 s0, s7
	s_mov_b32 s1, s6
	v_mov_b32_e32 v62, v13
	v_pk_mul_f32 v[12:13], v[46:47], s[0:1]
	s_mov_b32 s0, 0xbf7ee86f
	v_pk_add_f32 v[78:79], v[40:41], v[50:51] neg_lo:[0,1] neg_hi:[0,1]
	v_pk_add_f32 v[60:61], v[40:41], v[50:51]
	s_mov_b32 s1, 0x3dbcf732
	s_mov_b32 s14, 0xbf65296c
	v_mov_b32_e32 v36, v60
	v_mov_b32_e32 v37, v78
	s_mov_b32 s44, s1
	s_mov_b32 s45, s0
	;; [unrolled: 1-line block ×3, first 2 shown]
	v_accvgpr_write_b32 a2, v12
	v_pk_mul_f32 v[14:15], v[36:37], s[44:45]
	s_mov_b32 s16, s15
	s_mov_b32 s17, s14
	v_mov_b32_e32 v68, v79
	v_mov_b32_e32 v69, v61
	v_pk_fma_f32 v[28:29], v[62:63], s[6:7], v[12:13]
	v_accvgpr_write_b32 a3, v13
	v_pk_fma_f32 v[12:13], v[62:63], s[6:7], v[12:13] neg_lo:[0,0,1] neg_hi:[0,0,1]
	v_accvgpr_write_b32 a6, v14
	v_pk_mul_f32 v[80:81], v[46:47], s[16:17]
	s_mov_b32 s16, 0xbf4c4adb
	v_pk_fma_f32 v[30:31], v[68:69], s[0:1], v[14:15]
	v_accvgpr_write_b32 a7, v15
	v_pk_fma_f32 v[14:15], v[68:69], s[0:1], v[14:15] neg_lo:[0,0,1] neg_hi:[0,0,1]
	v_mov_b32_e32 v12, v28
	s_mov_b32 s17, 0xbf1a4643
	v_pk_add_f32 v[12:13], v[12:13], v[0:1]
	v_mov_b32_e32 v14, v30
	s_mov_b32 s48, s17
	s_mov_b32 s49, s16
	v_mov_b32_e32 v57, v29
	v_pk_add_f32 v[12:13], v[14:15], v[12:13]
	v_pk_fma_f32 v[28:29], v[62:63], s[14:15], v[80:81]
	v_pk_fma_f32 v[14:15], v[62:63], s[14:15], v[80:81] neg_lo:[0,0,1] neg_hi:[0,0,1]
	v_pk_mul_f32 v[90:91], v[36:37], s[48:49]
	v_accvgpr_write_b32 a5, v31
	v_accvgpr_write_b32 a11, v29
	v_mov_b32_e32 v14, v28
	v_pk_fma_f32 v[30:31], v[68:69], s[16:17], v[90:91]
	v_pk_fma_f32 v[28:29], v[68:69], s[16:17], v[90:91] neg_lo:[0,0,1] neg_hi:[0,0,1]
	v_pk_add_f32 v[14:15], v[14:15], v[0:1]
	v_mov_b32_e32 v28, v30
	v_pk_add_f32 v[128:129], v[42:43], v[48:49] neg_lo:[0,1] neg_hi:[0,1]
	v_pk_add_f32 v[14:15], v[28:29], v[14:15]
	s_mov_b32 s26, s17
	v_pk_add_f32 v[126:127], v[48:49], v[42:43]
	v_pk_mul_f32 v[28:29], v[128:129], s[16:17] op_sel_hi:[1,0]
	v_accvgpr_write_b32 a13, v31
	v_pk_fma_f32 v[30:31], v[126:127], s[26:27], v[28:29] op_sel:[0,0,1] op_sel_hi:[1,0,0]
	v_pk_fma_f32 v[74:75], v[126:127], s[26:27], v[28:29] op_sel:[0,0,1] op_sel_hi:[1,0,0] neg_lo:[0,0,1] neg_hi:[0,0,1]
	v_mov_b32_e32 v28, v30
	v_mov_b32_e32 v29, v75
	s_mov_b32 s18, 0x3e3c28d5
	v_pk_add_f32 v[12:13], v[28:29], v[12:13]
	s_mov_b32 s24, 0xbf7ba420
	v_pk_mul_f32 v[28:29], v[128:129], s[18:19] op_sel_hi:[1,0]
	v_accvgpr_write_b32 a9, v31
	v_pk_fma_f32 v[30:31], v[126:127], s[24:25], v[28:29] op_sel:[0,0,1] op_sel_hi:[1,0,0]
	v_pk_fma_f32 v[70:71], v[126:127], s[24:25], v[28:29] op_sel:[0,0,1] op_sel_hi:[1,0,0] neg_lo:[0,0,1] neg_hi:[0,0,1]
	v_mov_b32_e32 v28, v30
	v_mov_b32_e32 v29, v71
	s_mov_b32 s18, 0xbe3c28d5
	s_mov_b32 s19, s24
	v_pk_add_f32 v[132:133], v[20:21], v[26:27] neg_lo:[0,1] neg_hi:[0,1]
	v_pk_add_f32 v[14:15], v[28:29], v[14:15]
	s_mov_b32 s25, s18
	v_pk_add_f32 v[130:131], v[26:27], v[20:21]
	v_pk_mul_f32 v[28:29], v[132:133], s[18:19] op_sel:[1,0] op_sel_hi:[0,0]
	v_mov_b32_e32 v75, v31
	v_pk_fma_f32 v[30:31], v[130:131], s[24:25], v[28:29] op_sel_hi:[1,0,1]
	v_pk_fma_f32 v[94:95], v[130:131], s[24:25], v[28:29] op_sel_hi:[1,0,1] neg_lo:[0,0,1] neg_hi:[0,0,1]
	v_mov_b32_e32 v28, v30
	v_mov_b32_e32 v29, v95
	s_mov_b32 s28, 0x3f763a35
	v_pk_add_f32 v[12:13], v[28:29], v[12:13]
	s_mov_b32 s30, 0xbe8c1d8e
	v_pk_mul_f32 v[28:29], v[128:129], s[28:29] op_sel_hi:[1,0]
	s_mov_b32 s20, 0xbf763a35
	v_pk_fma_f32 v[34:35], v[126:127], s[30:31], v[28:29] op_sel:[0,0,1] op_sel_hi:[1,0,0]
	v_pk_fma_f32 v[76:77], v[126:127], s[30:31], v[28:29] op_sel:[0,0,1] op_sel_hi:[1,0,0] neg_lo:[0,0,1] neg_hi:[0,0,1]
	s_mov_b32 s31, s20
	s_mov_b32 s29, s30
	v_pk_mul_f32 v[116:117], v[46:47], s[30:31]
	s_mov_b32 s31, s28
	v_pk_mul_f32 v[28:29], v[132:133], s[28:29] op_sel:[1,0] op_sel_hi:[0,0]
	v_accvgpr_write_b32 a17, v31
	v_pk_fma_f32 v[30:31], v[130:131], s[30:31], v[28:29] op_sel_hi:[1,0,1]
	v_pk_fma_f32 v[88:89], v[130:131], s[30:31], v[28:29] op_sel_hi:[1,0,1] neg_lo:[0,0,1] neg_hi:[0,0,1]
	s_mov_b32 s22, 0x3f06c442
	v_mov_b32_e32 v28, v30
	v_mov_b32_e32 v29, v89
	s_mov_b32 s23, 0xbf59a7d5
	v_pk_add_f32 v[136:137], v[22:23], v[24:25] neg_lo:[0,1] neg_hi:[0,1]
	v_pk_add_f32 v[14:15], v[28:29], v[14:15]
	s_mov_b32 s34, s23
	v_pk_add_f32 v[134:135], v[24:25], v[22:23]
	v_pk_mul_f32 v[28:29], v[136:137], s[22:23] op_sel:[1,0] op_sel_hi:[0,0]
	v_accvgpr_write_b32 a15, v31
	v_pk_fma_f32 v[30:31], v[134:135], s[34:35], v[28:29] op_sel_hi:[1,0,1]
	v_pk_fma_f32 v[104:105], v[134:135], s[34:35], v[28:29] op_sel_hi:[1,0,1] neg_lo:[0,0,1] neg_hi:[0,0,1]
	v_mov_b32_e32 v28, v30
	v_mov_b32_e32 v29, v105
	s_mov_b32 s42, 0x3f2c7751
	v_pk_add_f32 v[12:13], v[28:29], v[12:13]
	s_mov_b32 s38, s7
	v_pk_mul_f32 v[28:29], v[136:137], s[42:43] op_sel:[1,0] op_sel_hi:[0,0]
	v_mov_b32_e32 v89, v31
	v_pk_fma_f32 v[30:31], v[134:135], s[38:39], v[28:29] op_sel_hi:[1,0,1]
	v_pk_fma_f32 v[100:101], v[134:135], s[38:39], v[28:29] op_sel_hi:[1,0,1] neg_lo:[0,0,1] neg_hi:[0,0,1]
	v_mov_b32_e32 v28, v30
	v_mov_b32_e32 v29, v101
	v_pk_add_f32 v[152:153], v[8:9], v[18:19] neg_lo:[0,1] neg_hi:[0,1]
	v_pk_add_f32 v[14:15], v[28:29], v[14:15]
	v_pk_add_f32 v[150:151], v[18:19], v[8:9]
	v_pk_mul_f32 v[28:29], v[152:153], s[28:29] op_sel:[1,0] op_sel_hi:[0,0]
	v_accvgpr_write_b32 a19, v31
	v_pk_fma_f32 v[30:31], v[150:151], s[30:31], v[28:29] op_sel_hi:[1,0,1]
	v_pk_fma_f32 v[114:115], v[150:151], s[30:31], v[28:29] op_sel_hi:[1,0,1] neg_lo:[0,0,1] neg_hi:[0,0,1]
	s_mov_b32 s36, 0xbeb8f4ab
	v_mov_b32_e32 v28, v30
	v_mov_b32_e32 v29, v115
	s_mov_b32 s37, 0x3f6eb680
	v_pk_add_f32 v[12:13], v[28:29], v[12:13]
	s_mov_b32 s52, s37
	v_pk_mul_f32 v[28:29], v[152:153], s[36:37] op_sel:[1,0] op_sel_hi:[0,0]
	v_mov_b32_e32 v101, v31
	v_pk_fma_f32 v[30:31], v[150:151], s[52:53], v[28:29] op_sel_hi:[1,0,1]
	v_pk_fma_f32 v[108:109], v[150:151], s[52:53], v[28:29] op_sel_hi:[1,0,1] neg_lo:[0,0,1] neg_hi:[0,0,1]
	v_mov_b32_e32 v28, v30
	v_mov_b32_e32 v29, v109
	s_mov_b32 s54, 0x3f65296c
	v_pk_add_f32 v[38:39], v[10:11], v[16:17] neg_lo:[0,1] neg_hi:[0,1]
	v_pk_add_f32 v[14:15], v[28:29], v[14:15]
	s_mov_b32 s40, s15
	v_pk_add_f32 v[192:193], v[16:17], v[10:11]
	v_pk_mul_f32 v[28:29], v[38:39], s[54:55] op_sel:[1,0] op_sel_hi:[0,0]
	v_accvgpr_write_b32 a21, v31
	v_pk_fma_f32 v[30:31], v[192:193], s[40:41], v[28:29] op_sel_hi:[1,0,1]
	v_pk_fma_f32 v[124:125], v[192:193], s[40:41], v[28:29] op_sel_hi:[1,0,1] neg_lo:[0,0,1] neg_hi:[0,0,1]
	v_mov_b32_e32 v28, v30
	v_mov_b32_e32 v29, v125
	v_pk_add_f32 v[12:13], v[28:29], v[12:13]
	s_mov_b32 s46, s1
	v_pk_mul_f32 v[28:29], v[38:39], s[0:1] op_sel:[1,0] op_sel_hi:[0,0]
	v_mov_b32_e32 v109, v31
	v_pk_fma_f32 v[30:31], v[192:193], s[46:47], v[28:29] op_sel_hi:[1,0,1]
	v_pk_fma_f32 v[120:121], v[192:193], s[46:47], v[28:29] op_sel_hi:[1,0,1] neg_lo:[0,0,1] neg_hi:[0,0,1]
	s_mov_b32 s50, 0x3eb8f4ab
	v_accvgpr_write_b32 a23, v31
	v_mov_b32_e32 v28, v30
	v_mov_b32_e32 v29, v121
	v_pk_mul_f32 v[30:31], v[132:133], s[50:51] op_sel:[1,0] op_sel_hi:[0,0]
	s_mov_b32 s51, s37
	v_pk_add_f32 v[202:203], v[4:5], v[6:7] neg_lo:[0,1] neg_hi:[0,1]
	v_pk_add_f32 v[28:29], v[28:29], v[14:15]
	v_pk_add_f32 v[200:201], v[6:7], v[4:5]
	v_pk_mul_f32 v[14:15], v[202:203], s[50:51] op_sel:[1,0] op_sel_hi:[0,0]
	v_pk_fma_f32 v[146:147], v[200:201], s[52:53], v[14:15] op_sel_hi:[1,0,1]
	v_pk_fma_f32 v[148:149], v[200:201], s[52:53], v[14:15] op_sel_hi:[1,0,1] neg_lo:[0,0,1] neg_hi:[0,0,1]
	s_mov_b32 s56, 0xbf06c442
	v_mov_b32_e32 v14, v146
	v_mov_b32_e32 v15, v149
	v_pk_add_f32 v[14:15], v[14:15], v[12:13]
	v_pk_mul_f32 v[12:13], v[202:203], s[56:57] op_sel:[1,0] op_sel_hi:[0,0]
	v_pk_fma_f32 v[138:139], v[200:201], s[34:35], v[12:13] op_sel_hi:[1,0,1]
	v_pk_fma_f32 v[140:141], v[200:201], s[34:35], v[12:13] op_sel_hi:[1,0,1] neg_lo:[0,0,1] neg_hi:[0,0,1]
	v_mov_b32_e32 v12, v138
	v_mov_b32_e32 v13, v141
	v_pk_mul_f32 v[206:207], v[46:47], s[44:45]
	v_pk_add_f32 v[12:13], v[12:13], v[28:29]
	v_pk_fma_f32 v[204:205], v[62:63], s[0:1], v[206:207]
	v_pk_fma_f32 v[28:29], v[62:63], s[0:1], v[206:207] neg_lo:[0,0,1] neg_hi:[0,0,1]
	v_pk_mul_f32 v[210:211], v[36:37], s[24:25]
	v_mov_b32_e32 v28, v204
	v_pk_fma_f32 v[208:209], v[68:69], s[18:19], v[210:211]
	v_pk_fma_f32 v[32:33], v[68:69], s[18:19], v[210:211] neg_lo:[0,0,1] neg_hi:[0,0,1]
	v_pk_add_f32 v[28:29], v[28:29], v[0:1]
	v_mov_b32_e32 v32, v208
	v_pk_add_f32 v[28:29], v[32:33], v[28:29]
	v_mov_b32_e32 v32, v34
	v_mov_b32_e32 v33, v77
	s_mov_b32 s21, s30
	s_mov_b32 s44, s23
	;; [unrolled: 1-line block ×3, first 2 shown]
	v_pk_add_f32 v[28:29], v[32:33], v[28:29]
	v_pk_fma_f32 v[218:219], v[62:63], s[20:21], v[116:117]
	v_pk_fma_f32 v[32:33], v[62:63], s[20:21], v[116:117] neg_lo:[0,0,1] neg_hi:[0,0,1]
	v_pk_mul_f32 v[216:217], v[36:37], s[44:45]
	v_mov_b32_e32 v71, v35
	v_mov_b32_e32 v32, v218
	v_pk_fma_f32 v[214:215], v[68:69], s[22:23], v[216:217]
	v_pk_fma_f32 v[34:35], v[68:69], s[22:23], v[216:217] neg_lo:[0,0,1] neg_hi:[0,0,1]
	v_pk_add_f32 v[32:33], v[32:33], v[0:1]
	v_mov_b32_e32 v34, v214
	v_pk_fma_f32 v[212:213], v[130:131], s[52:53], v[30:31] op_sel_hi:[1,0,1]
	v_pk_fma_f32 v[156:157], v[130:131], s[52:53], v[30:31] op_sel_hi:[1,0,1] neg_lo:[0,0,1] neg_hi:[0,0,1]
	v_pk_add_f32 v[32:33], v[34:35], v[32:33]
	v_pk_mul_f32 v[34:35], v[128:129], s[42:43] op_sel_hi:[1,0]
	v_mov_b32_e32 v30, v212
	v_mov_b32_e32 v31, v157
	v_pk_fma_f32 v[220:221], v[126:127], s[38:39], v[34:35] op_sel:[0,0,1] op_sel_hi:[1,0,0]
	v_pk_fma_f32 v[142:143], v[126:127], s[38:39], v[34:35] op_sel:[0,0,1] op_sel_hi:[1,0,0] neg_lo:[0,0,1] neg_hi:[0,0,1]
	v_pk_add_f32 v[28:29], v[30:31], v[28:29]
	v_pk_mul_f32 v[30:31], v[132:133], s[14:15] op_sel:[1,0] op_sel_hi:[0,0]
	v_mov_b32_e32 v34, v220
	v_mov_b32_e32 v35, v143
	v_pk_fma_f32 v[222:223], v[130:131], s[40:41], v[30:31] op_sel_hi:[1,0,1]
	v_pk_fma_f32 v[144:145], v[130:131], s[40:41], v[30:31] op_sel_hi:[1,0,1] neg_lo:[0,0,1] neg_hi:[0,0,1]
	v_pk_add_f32 v[32:33], v[34:35], v[32:33]
	v_mov_b32_e32 v30, v222
	v_mov_b32_e32 v31, v145
	v_pk_add_f32 v[30:31], v[30:31], v[32:33]
	v_pk_mul_f32 v[32:33], v[136:137], s[14:15] op_sel:[1,0] op_sel_hi:[0,0]
	v_pk_fma_f32 v[158:159], v[134:135], s[40:41], v[32:33] op_sel_hi:[1,0,1]
	v_pk_fma_f32 v[164:165], v[134:135], s[40:41], v[32:33] op_sel_hi:[1,0,1] neg_lo:[0,0,1] neg_hi:[0,0,1]
	v_mov_b32_e32 v32, v158
	v_mov_b32_e32 v33, v165
	v_pk_add_f32 v[28:29], v[32:33], v[28:29]
	v_pk_mul_f32 v[32:33], v[136:137], s[18:19] op_sel:[1,0] op_sel_hi:[0,0]
	v_pk_fma_f32 v[224:225], v[134:135], s[24:25], v[32:33] op_sel_hi:[1,0,1]
	v_pk_fma_f32 v[154:155], v[134:135], s[24:25], v[32:33] op_sel_hi:[1,0,1] neg_lo:[0,0,1] neg_hi:[0,0,1]
	;; [unrolled: 6-line block ×3, first 2 shown]
	v_mov_b32_e32 v32, v166
	v_mov_b32_e32 v33, v169
	s_mov_b32 s44, 0x3f7ee86f
	v_pk_add_f32 v[28:29], v[32:33], v[28:29]
	v_pk_mul_f32 v[32:33], v[152:153], s[44:45] op_sel:[1,0] op_sel_hi:[0,0]
	v_pk_fma_f32 v[160:161], v[150:151], s[46:47], v[32:33] op_sel_hi:[1,0,1]
	v_pk_fma_f32 v[162:163], v[150:151], s[46:47], v[32:33] op_sel_hi:[1,0,1] neg_lo:[0,0,1] neg_hi:[0,0,1]
	v_mov_b32_e32 v32, v160
	v_mov_b32_e32 v33, v163
	s_mov_b32 s58, 0x3f4c4adb
	v_pk_add_f32 v[30:31], v[32:33], v[30:31]
	v_pk_mul_f32 v[32:33], v[38:39], s[58:59] op_sel:[1,0] op_sel_hi:[0,0]
	v_pk_fma_f32 v[178:179], v[192:193], s[26:27], v[32:33] op_sel_hi:[1,0,1]
	v_pk_fma_f32 v[180:181], v[192:193], s[26:27], v[32:33] op_sel_hi:[1,0,1] neg_lo:[0,0,1] neg_hi:[0,0,1]
	v_mov_b32_e32 v32, v178
	v_mov_b32_e32 v33, v181
	v_pk_add_f32 v[28:29], v[32:33], v[28:29]
	v_pk_mul_f32 v[32:33], v[38:39], s[36:37] op_sel:[1,0] op_sel_hi:[0,0]
	v_pk_fma_f32 v[170:171], v[192:193], s[52:53], v[32:33] op_sel_hi:[1,0,1]
	v_pk_fma_f32 v[172:173], v[192:193], s[52:53], v[32:33] op_sel_hi:[1,0,1] neg_lo:[0,0,1] neg_hi:[0,0,1]
	v_mov_b32_e32 v32, v170
	v_mov_b32_e32 v33, v173
	;; [unrolled: 6-line block ×4, first 2 shown]
	v_pk_mul_f32 v[234:235], v[46:47], s[48:49]
	v_pk_add_f32 v[28:29], v[28:29], v[32:33]
	v_pk_fma_f32 v[230:231], v[62:63], s[16:17], v[234:235]
	v_pk_fma_f32 v[32:33], v[62:63], s[16:17], v[234:235] neg_lo:[0,0,1] neg_hi:[0,0,1]
	v_pk_mul_f32 v[236:237], v[36:37], s[30:31]
	v_mov_b32_e32 v32, v230
	v_pk_fma_f32 v[232:233], v[68:69], s[28:29], v[236:237]
	v_pk_fma_f32 v[34:35], v[68:69], s[28:29], v[236:237] neg_lo:[0,0,1] neg_hi:[0,0,1]
	v_pk_add_f32 v[32:33], v[32:33], v[0:1]
	v_mov_b32_e32 v34, v232
	v_pk_add_f32 v[32:33], v[34:35], v[32:33]
	v_pk_mul_f32 v[34:35], v[128:129], s[36:37] op_sel_hi:[1,0]
	s_mov_b32 s48, s23
	v_pk_fma_f32 v[238:239], v[126:127], s[52:53], v[34:35] op_sel:[0,0,1] op_sel_hi:[1,0,0]
	v_pk_fma_f32 v[182:183], v[126:127], s[52:53], v[34:35] op_sel:[0,0,1] op_sel_hi:[1,0,0] neg_lo:[0,0,1] neg_hi:[0,0,1]
	v_mov_b32_e32 v34, v238
	v_mov_b32_e32 v35, v183
	v_pk_add_f32 v[32:33], v[34:35], v[32:33]
	v_pk_mul_f32 v[34:35], v[132:133], s[56:57] op_sel:[1,0] op_sel_hi:[0,0]
	v_pk_fma_f32 v[240:241], v[130:131], s[34:35], v[34:35] op_sel_hi:[1,0,1]
	v_pk_fma_f32 v[188:189], v[130:131], s[34:35], v[34:35] op_sel_hi:[1,0,1] neg_lo:[0,0,1] neg_hi:[0,0,1]
	v_mov_b32_e32 v34, v240
	v_mov_b32_e32 v35, v189
	v_pk_add_f32 v[32:33], v[34:35], v[32:33]
	v_pk_mul_f32 v[34:35], v[136:137], s[44:45] op_sel:[1,0] op_sel_hi:[0,0]
	v_pk_fma_f32 v[242:243], v[134:135], s[46:47], v[34:35] op_sel_hi:[1,0,1]
	v_pk_fma_f32 v[190:191], v[134:135], s[46:47], v[34:35] op_sel_hi:[1,0,1] neg_lo:[0,0,1] neg_hi:[0,0,1]
	;; [unrolled: 6-line block ×4, first 2 shown]
	v_mov_b32_e32 v34, v196
	v_mov_b32_e32 v35, v199
	s_mov_b32 s49, s56
	v_pk_add_f32 v[32:33], v[34:35], v[32:33]
	v_pk_mul_f32 v[254:255], v[38:39], s[56:57] op_sel:[1,0] op_sel_hi:[0,0]
	v_pk_mul_f32 v[246:247], v[128:129], s[56:57] op_sel_hi:[1,0]
	s_mov_b32 s57, s23
	v_pk_mul_f32 v[34:35], v[46:47], s[48:49]
	s_mov_b32 s48, s15
	v_pk_fma_f32 v[58:59], v[62:63], s[56:57], v[34:35] neg_lo:[1,0,0] neg_hi:[1,0,0]
	v_pk_fma_f32 v[226:227], v[62:63], s[56:57], v[34:35]
	v_pk_fma_f32 v[34:35], v[62:63], s[56:57], v[34:35] neg_lo:[0,0,1] neg_hi:[0,0,1]
	s_mov_b32 s49, s54
	v_mov_b32_e32 v59, v227
	v_mov_b32_e32 v227, v35
	v_pk_mul_f32 v[248:249], v[152:153], s[54:55] op_sel:[1,0] op_sel_hi:[0,0]
	v_pk_mul_f32 v[34:35], v[202:203], s[54:55] op_sel:[1,0] op_sel_hi:[0,0]
	s_mov_b32 s55, s15
	v_pk_mul_f32 v[228:229], v[36:37], s[48:49]
	v_pk_add_f32 v[226:227], v[226:227], v[0:1]
	v_pk_fma_f32 v[52:53], v[78:79], s[54:55], v[228:229] op_sel:[1,0,0] neg_lo:[1,0,0] neg_hi:[1,0,0]
	v_pk_fma_f32 v[250:251], v[68:69], s[54:55], v[228:229]
	v_pk_fma_f32 v[228:229], v[68:69], s[54:55], v[228:229] neg_lo:[0,0,1] neg_hi:[0,0,1]
	v_mov_b32_e32 v53, v251
	v_mov_b32_e32 v251, v229
	v_pk_mul_f32 v[228:229], v[128:129], s[0:1] op_sel_hi:[1,0]
	v_pk_add_f32 v[226:227], v[250:251], v[226:227]
	v_pk_fma_f32 v[72:73], v[126:127], s[46:47], v[228:229] op_sel:[0,0,1] op_sel_hi:[1,0,0] neg_lo:[0,0,1] neg_hi:[0,0,1]
	v_pk_fma_f32 v[228:229], v[126:127], s[46:47], v[228:229] op_sel:[0,0,1] op_sel_hi:[1,0,0]
	s_mov_b32 s48, s37
	v_mov_b32_e32 v65, v229
	v_mov_b32_e32 v229, v73
	v_pk_add_f32 v[226:227], v[228:229], v[226:227]
	v_pk_mul_f32 v[228:229], v[132:133], s[58:59] op_sel:[1,0] op_sel_hi:[0,0]
	v_pk_fma_f32 v[82:83], v[130:131], s[26:27], v[228:229] op_sel_hi:[1,0,1] neg_lo:[0,0,1] neg_hi:[0,0,1]
	v_pk_fma_f32 v[228:229], v[130:131], s[26:27], v[228:229] op_sel_hi:[1,0,1]
	s_mov_b32 s49, s50
	v_mov_b32_e32 v73, v229
	v_mov_b32_e32 v229, v83
	v_pk_add_f32 v[226:227], v[228:229], v[226:227]
	v_pk_mul_f32 v[228:229], v[136:137], s[36:37] op_sel:[1,0] op_sel_hi:[0,0]
	v_pk_fma_f32 v[84:85], v[134:135], s[52:53], v[228:229] op_sel_hi:[1,0,1] neg_lo:[0,0,1] neg_hi:[0,0,1]
	v_pk_fma_f32 v[228:229], v[134:135], s[52:53], v[228:229] op_sel_hi:[1,0,1]
	v_pk_mul_f32 v[36:37], v[36:37], s[48:49]
	v_mov_b32_e32 v83, v229
	v_mov_b32_e32 v229, v85
	v_pk_add_f32 v[226:227], v[228:229], v[226:227]
	v_pk_mul_f32 v[228:229], v[152:153], s[18:19] op_sel:[1,0] op_sel_hi:[0,0]
	v_pk_fma_f32 v[86:87], v[150:151], s[24:25], v[228:229] op_sel_hi:[1,0,1] neg_lo:[0,0,1] neg_hi:[0,0,1]
	v_pk_fma_f32 v[228:229], v[150:151], s[24:25], v[228:229] op_sel_hi:[1,0,1]
	v_pk_fma_f32 v[102:103], v[78:79], s[50:51], v[36:37] op_sel:[1,0,0] neg_lo:[1,0,0] neg_hi:[1,0,0]
	v_mov_b32_e32 v85, v229
	v_mov_b32_e32 v229, v87
	v_pk_add_f32 v[226:227], v[228:229], v[226:227]
	v_pk_mul_f32 v[228:229], v[38:39], s[42:43] op_sel:[1,0] op_sel_hi:[0,0]
	v_pk_fma_f32 v[92:93], v[192:193], s[38:39], v[228:229] op_sel_hi:[1,0,1] neg_lo:[0,0,1] neg_hi:[0,0,1]
	v_pk_fma_f32 v[228:229], v[192:193], s[38:39], v[228:229] op_sel_hi:[1,0,1]
	v_pk_fma_f32 v[106:107], v[68:69], s[50:51], v[36:37]
	v_mov_b32_e32 v87, v229
	v_mov_b32_e32 v229, v93
	v_pk_add_f32 v[250:251], v[228:229], v[226:227]
	v_pk_fma_f32 v[226:227], v[200:201], s[40:41], v[34:35] op_sel_hi:[1,0,1]
	v_pk_fma_f32 v[228:229], v[200:201], s[40:41], v[34:35] op_sel_hi:[1,0,1] neg_lo:[0,0,1] neg_hi:[0,0,1]
	v_mov_b32_e32 v34, v226
	v_mov_b32_e32 v35, v229
	v_pk_add_f32 v[34:35], v[34:35], v[32:33]
	v_pk_mul_f32 v[32:33], v[202:203], s[20:21] op_sel:[1,0] op_sel_hi:[0,0]
	v_pk_fma_f32 v[96:97], v[200:201], s[30:31], v[32:33] op_sel_hi:[1,0,1] neg_lo:[0,0,1] neg_hi:[0,0,1]
	v_pk_fma_f32 v[32:33], v[200:201], s[30:31], v[32:33] op_sel_hi:[1,0,1]
	v_mov_b32_e32 v103, v107
	v_mov_b32_e32 v93, v33
	;; [unrolled: 1-line block ×3, first 2 shown]
	v_pk_add_f32 v[32:33], v[32:33], v[250:251]
	v_pk_mul_f32 v[250:251], v[46:47], s[24:25]
	v_pk_fma_f32 v[110:111], v[126:127], s[34:35], v[246:247] op_sel:[0,0,1] op_sel_hi:[1,0,0] neg_lo:[0,0,1] neg_hi:[0,0,1]
	v_pk_fma_f32 v[252:253], v[62:63], s[18:19], v[250:251] neg_lo:[1,0,0] neg_hi:[1,0,0]
	v_pk_fma_f32 v[98:99], v[62:63], s[18:19], v[250:251]
	v_pk_fma_f32 v[246:247], v[126:127], s[34:35], v[246:247] op_sel:[0,0,1] op_sel_hi:[1,0,0]
	v_mov_b32_e32 v253, v99
	v_pk_add_f32 v[252:253], v[252:253], v[0:1]
	v_pk_fma_f32 v[122:123], v[150:151], s[40:41], v[248:249] op_sel_hi:[1,0,1] neg_lo:[0,0,1] neg_hi:[0,0,1]
	v_pk_add_f32 v[102:103], v[102:103], v[252:253]
	v_mov_b32_e32 v252, v110
	v_mov_b32_e32 v253, v247
	v_pk_add_f32 v[102:103], v[252:253], v[102:103]
	v_pk_mul_f32 v[252:253], v[132:133], s[42:43] op_sel:[1,0] op_sel_hi:[0,0]
	v_pk_fma_f32 v[118:119], v[130:131], s[38:39], v[252:253] op_sel_hi:[1,0,1] neg_lo:[0,0,1] neg_hi:[0,0,1]
	v_pk_fma_f32 v[252:253], v[130:131], s[38:39], v[252:253] op_sel_hi:[1,0,1]
	v_mov_b32_e32 v112, v118
	v_mov_b32_e32 v113, v253
	v_pk_add_f32 v[102:103], v[112:113], v[102:103]
	v_pk_mul_f32 v[112:113], v[136:137], s[16:17] op_sel:[1,0] op_sel_hi:[0,0]
	v_pk_fma_f32 v[66:67], v[134:135], s[26:27], v[112:113] op_sel_hi:[1,0,1] neg_lo:[0,0,1] neg_hi:[0,0,1]
	v_pk_fma_f32 v[112:113], v[134:135], s[26:27], v[112:113] op_sel_hi:[1,0,1]
	v_mov_b32_e32 v54, v66
	v_mov_b32_e32 v55, v113
	v_pk_fma_f32 v[248:249], v[150:151], s[40:41], v[248:249] op_sel_hi:[1,0,1]
	v_pk_add_f32 v[54:55], v[54:55], v[102:103]
	v_mov_b32_e32 v102, v122
	v_mov_b32_e32 v103, v249
	v_pk_add_f32 v[54:55], v[102:103], v[54:55]
	v_pk_fma_f32 v[102:103], v[62:63], s[18:19], v[250:251] neg_lo:[0,0,1] neg_hi:[0,0,1]
	v_pk_fma_f32 v[36:37], v[68:69], s[50:51], v[36:37] neg_lo:[0,0,1] neg_hi:[0,0,1]
	v_mov_b32_e32 v99, v103
	v_mov_b32_e32 v107, v37
	v_pk_add_f32 v[36:37], v[98:99], v[0:1]
	v_mov_b32_e32 v247, v111
	v_pk_add_f32 v[36:37], v[106:107], v[36:37]
	;; [unrolled: 2-line block ×4, first 2 shown]
	v_pk_mul_f32 v[38:39], v[38:39], s[20:21] op_sel:[1,0] op_sel_hi:[0,0]
	v_mov_b32_e32 v249, v123
	v_pk_add_f32 v[36:37], v[112:113], v[36:37]
	v_pk_fma_f32 v[66:67], v[192:193], s[30:31], v[38:39] op_sel_hi:[1,0,1] neg_lo:[0,0,1] neg_hi:[0,0,1]
	v_pk_fma_f32 v[38:39], v[192:193], s[30:31], v[38:39] op_sel_hi:[1,0,1]
	v_pk_add_f32 v[36:37], v[248:249], v[36:37]
	v_mov_b32_e32 v99, v39
	v_mov_b32_e32 v39, v67
	v_mov_b32_e32 v98, v66
	v_pk_add_f32 v[38:39], v[38:39], v[36:37]
	v_pk_mul_f32 v[36:37], v[200:201], s[46:47] op_sel_hi:[1,0]
	v_pk_add_f32 v[54:55], v[98:99], v[54:55]
	v_pk_fma_f32 v[66:67], v[202:203], s[44:45], v[36:37] op_sel:[1,0,0] op_sel_hi:[0,0,1] neg_lo:[1,0,0] neg_hi:[1,0,0]
	v_pk_fma_f32 v[98:99], v[202:203], s[44:45], v[36:37] op_sel:[1,0,0] op_sel_hi:[0,0,1]
	v_mov_b32_e32 v36, v66
	v_mov_b32_e32 v37, v99
	v_pk_add_f32 v[36:37], v[36:37], v[54:55]
	v_pk_mul_f32 v[54:55], v[78:79], s[6:7] op_sel:[1,0] op_sel_hi:[0,0]
	v_pk_fma_f32 v[78:79], v[60:61], s[38:39], v[54:55] op_sel_hi:[1,0,1]
	v_pk_fma_f32 v[246:247], v[60:61], s[38:39], v[54:55] op_sel_hi:[1,0,1] neg_lo:[0,0,1] neg_hi:[0,0,1]
	s_mov_b32 s38, s37
	s_mov_b32 s39, s36
	v_pk_mul_f32 v[252:253], v[46:47], s[38:39]
	v_mov_b32_e32 v54, v78
	v_pk_fma_f32 v[250:251], v[62:63], s[36:37], v[252:253]
	v_pk_fma_f32 v[46:47], v[62:63], s[36:37], v[252:253] neg_lo:[0,0,1] neg_hi:[0,0,1]
	v_mov_b32_e32 v55, v247
	v_mov_b32_e32 v46, v250
	v_pk_add_f32 v[46:47], v[46:47], v[0:1]
	v_pk_fma_f32 v[248:249], v[192:193], s[34:35], v[254:255] op_sel_hi:[1,0,1]
	v_pk_add_f32 v[46:47], v[54:55], v[46:47]
	v_pk_mul_f32 v[54:55], v[128:129], s[14:15] op_sel_hi:[1,0]
	v_pk_fma_f32 v[192:193], v[192:193], s[34:35], v[254:255] op_sel_hi:[1,0,1] neg_lo:[0,0,1] neg_hi:[0,0,1]
	v_pk_fma_f32 v[128:129], v[126:127], s[40:41], v[54:55] op_sel:[0,0,1] op_sel_hi:[1,0,0]
	v_pk_fma_f32 v[126:127], v[126:127], s[40:41], v[54:55] op_sel:[0,0,1] op_sel_hi:[1,0,0] neg_lo:[0,0,1] neg_hi:[0,0,1]
	v_mov_b32_e32 v54, v128
	v_mov_b32_e32 v55, v127
	v_pk_add_f32 v[46:47], v[54:55], v[46:47]
	v_pk_mul_f32 v[54:55], v[132:133], s[0:1] op_sel:[1,0] op_sel_hi:[0,0]
	v_pk_fma_f32 v[132:133], v[130:131], s[46:47], v[54:55] op_sel_hi:[1,0,1]
	v_pk_fma_f32 v[130:131], v[130:131], s[46:47], v[54:55] op_sel_hi:[1,0,1] neg_lo:[0,0,1] neg_hi:[0,0,1]
	v_mov_b32_e32 v54, v132
	v_mov_b32_e32 v55, v131
	v_pk_add_f32 v[46:47], v[54:55], v[46:47]
	v_pk_mul_f32 v[54:55], v[136:137], s[20:21] op_sel:[1,0] op_sel_hi:[0,0]
	v_pk_fma_f32 v[136:137], v[134:135], s[30:31], v[54:55] op_sel_hi:[1,0,1]
	v_pk_fma_f32 v[134:135], v[134:135], s[30:31], v[54:55] op_sel_hi:[1,0,1] neg_lo:[0,0,1] neg_hi:[0,0,1]
	v_mov_b32_e32 v54, v136
	v_mov_b32_e32 v55, v135
	v_pk_add_f32 v[46:47], v[54:55], v[46:47]
	v_pk_mul_f32 v[54:55], v[152:153], s[16:17] op_sel:[1,0] op_sel_hi:[0,0]
	v_pk_fma_f32 v[152:153], v[150:151], s[26:27], v[54:55] op_sel_hi:[1,0,1]
	v_pk_fma_f32 v[150:151], v[150:151], s[26:27], v[54:55] op_sel_hi:[1,0,1] neg_lo:[0,0,1] neg_hi:[0,0,1]
	v_mov_b32_e32 v54, v152
	v_mov_b32_e32 v55, v151
	v_pk_add_f32 v[46:47], v[54:55], v[46:47]
	v_mov_b32_e32 v54, v248
	v_mov_b32_e32 v55, v193
	v_pk_add_f32 v[46:47], v[54:55], v[46:47]
	v_pk_mul_f32 v[54:55], v[202:203], s[18:19] op_sel:[1,0] op_sel_hi:[0,0]
	v_pk_fma_f32 v[202:203], v[200:201], s[24:25], v[54:55] op_sel_hi:[1,0,1]
	v_pk_fma_f32 v[200:201], v[200:201], s[24:25], v[54:55] op_sel_hi:[1,0,1] neg_lo:[0,0,1] neg_hi:[0,0,1]
	v_mov_b32_e32 v54, v202
	v_mov_b32_e32 v55, v201
	v_pk_add_f32 v[60:61], v[54:55], v[46:47]
	v_pk_add_f32 v[46:47], v[58:59], v[0:1]
	v_mov_b32_e32 v64, v72
	v_pk_add_f32 v[46:47], v[52:53], v[46:47]
	v_mov_b32_e32 v72, v82
	;; [unrolled: 2-line block ×7, first 2 shown]
	v_accvgpr_read_b32 v122, a1
	v_pk_add_f32 v[38:39], v[98:99], v[38:39]
	v_pk_add_f32 v[46:47], v[92:93], v[46:47]
	v_mul_lo_u16_e32 v64, 17, v122
	s_barrier
	s_and_saveexec_b64 s[24:25], s[2:3]
	s_cbranch_execz .LBB0_7
; %bb.6:
	v_pk_add_f32 v[2:3], v[2:3], v[0:1]
	v_pk_mul_f32 v[58:59], v[62:63], s[36:37]
	v_pk_add_f32 v[2:3], v[40:41], v[2:3]
	v_pk_add_f32 v[58:59], v[252:253], v[58:59] neg_lo:[0,1] neg_hi:[0,1]
	v_pk_add_f32 v[2:3], v[42:43], v[2:3]
	v_mov_b32_e32 v59, v251
	v_pk_add_f32 v[2:3], v[20:21], v[2:3]
	v_mov_b32_e32 v247, v79
	;; [unrolled: 2-line block ×3, first 2 shown]
	v_pk_add_f32 v[2:3], v[8:9], v[2:3]
	v_pk_mul_f32 v[82:83], v[62:63], s[14:15]
	v_pk_add_f32 v[2:3], v[10:11], v[2:3]
	v_pk_mul_f32 v[86:87], v[68:69], s[16:17]
	v_pk_add_f32 v[2:3], v[4:5], v[2:3]
	v_pk_add_f32 v[4:5], v[58:59], v[0:1]
	;; [unrolled: 1-line block ×7, first 2 shown]
	v_mov_b32_e32 v131, v133
	v_pk_add_f32 v[80:81], v[80:81], v[82:83] neg_lo:[0,1] neg_hi:[0,1]
	v_pk_add_f32 v[82:83], v[90:91], v[86:87] neg_lo:[0,1] neg_hi:[0,1]
	v_accvgpr_read_b32 v87, a3
	v_pk_add_f32 v[2:3], v[24:25], v[2:3]
	v_pk_add_f32 v[4:5], v[130:131], v[4:5]
	v_mov_b32_e32 v135, v137
	v_pk_mul_f32 v[66:67], v[62:63], s[6:7]
	v_accvgpr_read_b32 v86, a2
	v_pk_add_f32 v[2:3], v[26:27], v[2:3]
	v_pk_add_f32 v[4:5], v[134:135], v[4:5]
	v_mov_b32_e32 v151, v153
	v_pk_add_f32 v[66:67], v[86:87], v[66:67] neg_lo:[0,1] neg_hi:[0,1]
	v_accvgpr_read_b32 v87, a7
	v_pk_add_f32 v[2:3], v[48:49], v[2:3]
	v_pk_add_f32 v[4:5], v[150:151], v[4:5]
	v_mov_b32_e32 v193, v249
	v_pk_mul_f32 v[72:73], v[68:69], s[0:1]
	v_accvgpr_read_b32 v86, a6
	v_pk_add_f32 v[2:3], v[50:51], v[2:3]
	v_pk_add_f32 v[4:5], v[192:193], v[4:5]
	v_mov_b32_e32 v201, v203
	v_accvgpr_read_b32 v81, a11
	v_mov_b32_e32 v67, v57
	v_pk_add_f32 v[72:73], v[86:87], v[72:73] neg_lo:[0,1] neg_hi:[0,1]
	v_lshlrev_b32_e32 v20, 3, v64
	v_pk_add_f32 v[2:3], v[44:45], v[2:3]
	v_pk_add_f32 v[4:5], v[200:201], v[4:5]
	v_accvgpr_read_b32 v83, a13
	v_accvgpr_read_b32 v73, a5
	ds_write2_b64 v20, v[2:3], v[4:5] offset1:1
	v_pk_add_f32 v[2:3], v[66:67], v[0:1]
	v_pk_add_f32 v[4:5], v[80:81], v[0:1]
	v_mov_b32_e32 v77, v71
	v_mov_b32_e32 v71, v75
	v_pk_add_f32 v[2:3], v[72:73], v[2:3]
	v_accvgpr_read_b32 v75, a9
	v_pk_add_f32 v[4:5], v[82:83], v[4:5]
	v_pk_add_f32 v[2:3], v[74:75], v[2:3]
	v_accvgpr_read_b32 v95, a17
	v_mov_b32_e32 v105, v89
	v_pk_add_f32 v[4:5], v[70:71], v[4:5]
	v_accvgpr_read_b32 v89, a15
	v_pk_add_f32 v[2:3], v[94:95], v[2:3]
	v_mov_b32_e32 v115, v101
	v_pk_add_f32 v[4:5], v[88:89], v[4:5]
	v_accvgpr_read_b32 v101, a19
	v_pk_add_f32 v[2:3], v[104:105], v[2:3]
	v_mov_b32_e32 v125, v109
	v_pk_add_f32 v[4:5], v[100:101], v[4:5]
	v_accvgpr_read_b32 v109, a21
	v_pk_mul_f32 v[52:53], v[62:63], s[16:17]
	v_pk_mul_f32 v[84:85], v[62:63], s[20:21]
	v_pk_mul_f32 v[62:63], v[62:63], s[0:1]
	v_pk_add_f32 v[2:3], v[114:115], v[2:3]
	v_pk_add_f32 v[4:5], v[108:109], v[4:5]
	v_accvgpr_read_b32 v121, a23
	v_pk_add_f32 v[52:53], v[234:235], v[52:53] neg_lo:[0,1] neg_hi:[0,1]
	v_pk_mul_f32 v[54:55], v[68:69], s[28:29]
	v_pk_add_f32 v[84:85], v[116:117], v[84:85] neg_lo:[0,1] neg_hi:[0,1]
	v_pk_mul_f32 v[92:93], v[68:69], s[18:19]
	v_pk_mul_f32 v[68:69], v[68:69], s[22:23]
	v_pk_add_f32 v[62:63], v[206:207], v[62:63] neg_lo:[0,1] neg_hi:[0,1]
	v_pk_add_f32 v[2:3], v[124:125], v[2:3]
	v_mov_b32_e32 v149, v147
	v_pk_add_f32 v[4:5], v[120:121], v[4:5]
	v_mov_b32_e32 v141, v139
	v_mov_b32_e32 v53, v231
	v_pk_add_f32 v[54:55], v[236:237], v[54:55] neg_lo:[0,1] neg_hi:[0,1]
	v_mov_b32_e32 v85, v219
	v_pk_add_f32 v[68:69], v[216:217], v[68:69] neg_lo:[0,1] neg_hi:[0,1]
	;; [unrolled: 2-line block ×3, first 2 shown]
	v_pk_add_f32 v[2:3], v[148:149], v[2:3]
	v_pk_add_f32 v[4:5], v[140:141], v[4:5]
	v_mov_b32_e32 v55, v233
	v_mov_b32_e32 v69, v215
	;; [unrolled: 1-line block ×3, first 2 shown]
	ds_write2_b64 v20, v[2:3], v[4:5] offset0:2 offset1:3
	v_pk_add_f32 v[2:3], v[62:63], v[0:1]
	v_pk_add_f32 v[4:5], v[84:85], v[0:1]
	v_pk_add_f32 v[0:1], v[52:53], v[0:1]
	v_mov_b32_e32 v183, v239
	v_mov_b32_e32 v143, v221
	v_pk_add_f32 v[2:3], v[92:93], v[2:3]
	v_pk_add_f32 v[4:5], v[68:69], v[4:5]
	;; [unrolled: 1-line block ×3, first 2 shown]
	v_mov_b32_e32 v189, v241
	v_mov_b32_e32 v145, v223
	;; [unrolled: 1-line block ×3, first 2 shown]
	v_pk_add_f32 v[2:3], v[76:77], v[2:3]
	v_pk_add_f32 v[4:5], v[142:143], v[4:5]
	;; [unrolled: 1-line block ×3, first 2 shown]
	v_mov_b32_e32 v191, v243
	v_mov_b32_e32 v155, v225
	v_pk_add_f32 v[2:3], v[156:157], v[2:3]
	v_mov_b32_e32 v165, v159
	v_pk_add_f32 v[4:5], v[144:145], v[4:5]
	v_pk_add_f32 v[0:1], v[188:189], v[0:1]
	v_mov_b32_e32 v195, v245
	v_pk_add_f32 v[2:3], v[164:165], v[2:3]
	v_mov_b32_e32 v169, v167
	;; [unrolled: 2-line block ×3, first 2 shown]
	v_pk_add_f32 v[0:1], v[190:191], v[0:1]
	v_pk_add_f32 v[2:3], v[168:169], v[2:3]
	v_mov_b32_e32 v181, v179
	v_pk_add_f32 v[4:5], v[162:163], v[4:5]
	v_mov_b32_e32 v173, v171
	;; [unrolled: 2-line block ×6, first 2 shown]
	v_pk_add_f32 v[2:3], v[186:187], v[2:3]
	v_pk_add_f32 v[4:5], v[176:177], v[4:5]
	;; [unrolled: 1-line block ×3, first 2 shown]
	ds_write2_b64 v20, v[2:3], v[4:5] offset0:4 offset1:5
	ds_write2_b64 v20, v[0:1], v[46:47] offset0:6 offset1:7
	;; [unrolled: 1-line block ×6, first 2 shown]
	ds_write_b64 v20, v[60:61] offset:128
.LBB0_7:
	s_or_b64 exec, exec, s[24:25]
	s_movk_i32 s0, 0xf1
	v_mul_lo_u16_sdwa v0, v122, s0 dst_sel:DWORD dst_unused:UNUSED_PAD src0_sel:BYTE_0 src1_sel:DWORD
	v_lshrrev_b16_e32 v42, 12, v0
	v_mul_lo_u16_e32 v0, 17, v42
	v_sub_u16_e32 v0, v122, v0
	v_and_b32_e32 v43, 0xff, v0
	v_mul_u32_u24_e32 v0, 6, v43
	v_lshlrev_b32_e32 v16, 3, v0
	s_load_dwordx4 s[4:7], s[4:5], 0x0
	s_waitcnt lgkmcnt(0)
	s_barrier
	global_load_dwordx4 v[8:11], v16, s[10:11] offset:16
	global_load_dwordx4 v[4:7], v16, s[10:11]
	global_load_dwordx4 v[0:3], v16, s[10:11] offset:32
	v_add_u32_e32 v57, 0x400, v56
	v_add_u32_e32 v62, 0xc00, v56
	ds_read2_b64 v[16:19], v56 offset1:119
	ds_read_b64 v[40:41], v56 offset:5712
	ds_read2_b64 v[20:23], v57 offset0:110 offset1:229
	ds_read2_b64 v[24:27], v62 offset0:92 offset1:211
	v_mul_u32_u24_e32 v42, 0x77, v42
	v_add_lshl_u32 v120, v42, v43, 3
	s_mov_b32 s0, 0x3eae86e6
	s_waitcnt lgkmcnt(1)
	v_mov_b32_e32 v42, v21
	s_waitcnt lgkmcnt(0)
	v_mov_b32_e32 v43, v24
	v_mov_b32_e32 v44, v27
	;; [unrolled: 1-line block ×3, first 2 shown]
	s_mov_b32 s1, 0xbf08b237
	s_mov_b32 s20, 0x3d64c772
	;; [unrolled: 1-line block ×9, first 2 shown]
	s_barrier
	s_mov_b32 s24, 0x3f5ff5aa
	s_mov_b32 s26, 0x3f3bfb3b
	s_waitcnt vmcnt(2)
	v_mul_f32_e32 v49, v23, v8
	v_mul_f32_e32 v51, v22, v9
	;; [unrolled: 1-line block ×4, first 2 shown]
	s_waitcnt vmcnt(1)
	v_mul_f32_e32 v48, v21, v7
	s_waitcnt vmcnt(0)
	v_mul_f32_e32 v50, v27, v1
	v_mov_b32_e32 v21, v25
	v_mov_b32_e32 v24, v7
	;; [unrolled: 1-line block ×6, first 2 shown]
	v_pk_mul_f32 v[58:59], v[18:19], v[4:5] op_sel_hi:[1,0]
	v_mov_b32_e32 v66, v6
	v_mov_b32_e32 v67, v10
	;; [unrolled: 1-line block ×4, first 2 shown]
	v_pk_mul_f32 v[70:71], v[40:41], v[2:3] op_sel_hi:[1,0]
	v_mov_b32_e32 v52, v3
	v_fma_f32 v48, v20, v6, -v48
	v_pk_mul_f32 v[20:21], v[20:21], v[24:25]
	v_pk_mul_f32 v[22:23], v[26:27], v[22:23]
	v_fma_f32 v50, v26, v0, -v50
	v_pk_fma_f32 v[72:73], v[18:19], v[4:5], v[58:59] op_sel:[0,1,1] op_sel_hi:[1,1,0]
	v_pk_fma_f32 v[18:19], v[18:19], v[4:5], v[58:59] op_sel:[0,1,1] op_sel_hi:[1,1,0] neg_lo:[1,0,0] neg_hi:[1,0,0]
	v_pk_fma_f32 v[24:25], v[40:41], v[52:53], v[70:71] op_sel:[0,0,1] op_sel_hi:[1,0,0]
	v_pk_fma_f32 v[26:27], v[40:41], v[52:53], v[70:71] op_sel:[0,0,1] op_sel_hi:[1,0,0] neg_lo:[1,0,0] neg_hi:[1,0,0]
	v_pk_fma_f32 v[58:59], v[42:43], v[6:7], v[20:21]
	v_pk_fma_f32 v[20:21], v[42:43], v[66:67], v[20:21] neg_lo:[0,0,1] neg_hi:[0,0,1]
	v_pk_fma_f32 v[42:43], v[44:45], v[0:1], v[22:23]
	v_pk_fma_f32 v[22:23], v[44:45], v[68:69], v[22:23] neg_lo:[0,0,1] neg_hi:[0,0,1]
	v_mov_b32_e32 v73, v19
	v_mov_b32_e32 v25, v27
	;; [unrolled: 1-line block ×6, first 2 shown]
	v_pk_add_f32 v[40:41], v[48:49], v[50:51]
	v_mov_b32_e32 v19, v48
	v_mov_b32_e32 v27, v50
	v_pk_add_f32 v[44:45], v[72:73], v[24:25]
	v_pk_add_f32 v[48:49], v[52:53], v[54:55]
	;; [unrolled: 1-line block ×3, first 2 shown]
	v_mov_b32_e32 v26, v41
	v_mov_b32_e32 v20, v23
	;; [unrolled: 1-line block ×6, first 2 shown]
	v_pk_add_f32 v[24:25], v[72:73], v[24:25] neg_lo:[0,1] neg_hi:[0,1]
	v_pk_add_f32 v[42:43], v[58:59], v[42:43] neg_lo:[0,1] neg_hi:[0,1]
	v_pk_add_f32 v[58:59], v[40:41], v[48:49]
	v_pk_add_f32 v[18:19], v[18:19], v[26:27] neg_lo:[0,1] neg_hi:[0,1]
	v_pk_add_f32 v[20:21], v[20:21], v[22:23]
	v_mov_b32_e32 v55, v25
	v_mov_b32_e32 v54, v18
	;; [unrolled: 1-line block ×7, first 2 shown]
	v_pk_add_f32 v[54:55], v[54:55], v[42:43] neg_lo:[0,1] neg_hi:[0,1]
	v_pk_add_f32 v[66:67], v[66:67], v[40:41] neg_lo:[0,1] neg_hi:[0,1]
	v_mov_b32_e32 v49, v59
	v_mov_b32_e32 v68, v20
	v_mov_b32_e32 v69, v50
	v_pk_add_f32 v[20:21], v[58:59], v[20:21]
	v_pk_add_f32 v[26:27], v[52:53], v[18:19] neg_lo:[0,1] neg_hi:[0,1]
	v_pk_add_f32 v[52:53], v[42:43], v[18:19]
	v_pk_mul_f32 v[54:55], v[54:55], s[16:17]
	v_pk_add_f32 v[68:69], v[48:49], v[68:69] neg_lo:[0,1] neg_hi:[0,1]
	v_pk_add_f32 v[16:17], v[16:17], v[20:21]
	v_pk_mul_f32 v[58:59], v[66:67], s[20:21]
	v_pk_mul_f32 v[22:23], v[26:27], s[0:1]
	v_pk_add_f32 v[52:53], v[52:53], v[24:25]
	v_pk_mul_f32 v[66:67], v[68:69], s[22:23]
	v_pk_fma_f32 v[20:21], v[20:21], s[18:19], v[16:17] op_sel_hi:[1,0,1] neg_lo:[1,0,0] neg_hi:[1,0,0]
	v_pk_fma_f32 v[68:69], v[68:69], s[22:23], v[58:59]
	v_pk_fma_f32 v[26:27], v[26:27], s[0:1], v[54:55]
	v_pk_add_f32 v[68:69], v[68:69], v[20:21]
	v_pk_fma_f32 v[26:27], v[52:53], s[14:15], v[26:27] op_sel_hi:[1,0,1]
	v_mov_b32_e32 v43, v19
	v_pk_add_f32 v[70:71], v[68:69], v[26:27]
	v_pk_add_f32 v[26:27], v[68:69], v[26:27] neg_lo:[0,1] neg_hi:[0,1]
	v_mov_b32_e32 v68, v70
	v_mov_b32_e32 v69, v27
	;; [unrolled: 1-line block ×4, first 2 shown]
	ds_write2_b64 v120, v[16:17], v[68:69] offset1:17
	v_pk_add_f32 v[16:17], v[42:43], v[24:25] neg_lo:[0,1] neg_hi:[0,1]
	v_pk_add_f32 v[18:19], v[40:41], v[48:49] neg_lo:[0,1] neg_hi:[0,1]
	v_mov_b32_e32 v24, v66
	v_mov_b32_e32 v25, v59
	;; [unrolled: 1-line block ×6, first 2 shown]
	v_pk_fma_f32 v[24:25], v[18:19], s[26:27], v[24:25] op_sel_hi:[1,0,1] neg_lo:[1,0,1] neg_hi:[1,0,1]
	v_pk_fma_f32 v[40:41], v[16:17], s[24:25], v[40:41] op_sel_hi:[1,0,1] neg_lo:[1,0,1] neg_hi:[1,0,1]
	;; [unrolled: 1-line block ×4, first 2 shown]
	v_pk_add_f32 v[24:25], v[24:25], v[20:21]
	v_pk_fma_f32 v[40:41], v[52:53], s[14:15], v[40:41] op_sel_hi:[1,0,1]
	v_pk_add_f32 v[18:19], v[18:19], v[20:21]
	v_pk_fma_f32 v[16:17], v[52:53], s[14:15], v[16:17] op_sel_hi:[1,0,1]
	v_pk_add_f32 v[42:43], v[24:25], v[40:41]
	v_pk_add_f32 v[24:25], v[24:25], v[40:41] neg_lo:[0,1] neg_hi:[0,1]
	v_pk_add_f32 v[20:21], v[18:19], v[16:17] neg_lo:[0,1] neg_hi:[0,1]
	v_pk_add_f32 v[16:17], v[18:19], v[16:17]
	v_mov_b32_e32 v40, v42
	v_mov_b32_e32 v41, v25
	;; [unrolled: 1-line block ×4, first 2 shown]
	ds_write2_b64 v120, v[40:41], v[18:19] offset0:34 offset1:51
	v_mov_b32_e32 v17, v21
	v_mov_b32_e32 v25, v43
	;; [unrolled: 1-line block ×3, first 2 shown]
	v_mad_u64_u32 v[40:41], s[10:11], v122, 48, s[10:11]
	ds_write2_b64 v120, v[16:17], v[24:25] offset0:68 offset1:85
	ds_write_b64 v120, v[26:27] offset:816
	s_waitcnt lgkmcnt(0)
	s_barrier
	global_load_dwordx4 v[20:23], v[40:41], off offset:816
	global_load_dwordx4 v[124:127], v[40:41], off offset:848
	;; [unrolled: 1-line block ×3, first 2 shown]
	ds_read2_b64 v[40:43], v56 offset1:119
	ds_read2_b64 v[48:51], v57 offset0:110 offset1:229
	ds_read2_b64 v[52:55], v62 offset0:92 offset1:211
	ds_read_b64 v[44:45], v56 offset:5712
	s_waitcnt vmcnt(2) lgkmcnt(3)
	v_pk_mul_f32 v[58:59], v[42:43], v[20:21] op_sel_hi:[1,0]
	s_waitcnt lgkmcnt(2)
	v_pk_mul_f32 v[66:67], v[48:49], v[22:23] op_sel_hi:[1,0]
	v_mov_b32_e32 v68, v23
	s_waitcnt vmcnt(1) lgkmcnt(1)
	v_pk_mul_f32 v[70:71], v[54:55], v[124:125] op_sel_hi:[1,0]
	v_pk_fma_f32 v[72:73], v[42:43], v[20:21], v[58:59] op_sel:[0,1,1] op_sel_hi:[1,1,0]
	v_pk_fma_f32 v[42:43], v[42:43], v[20:21], v[58:59] op_sel:[0,1,1] op_sel_hi:[1,1,0] neg_lo:[1,0,0] neg_hi:[1,0,0]
	v_pk_fma_f32 v[58:59], v[48:49], v[68:69], v[66:67] op_sel:[0,0,1] op_sel_hi:[1,0,0]
	v_pk_fma_f32 v[48:49], v[48:49], v[68:69], v[66:67] op_sel:[0,0,1] op_sel_hi:[1,0,0] neg_lo:[1,0,0] neg_hi:[1,0,0]
	v_pk_fma_f32 v[66:67], v[54:55], v[124:125], v[70:71] op_sel:[0,1,1] op_sel_hi:[1,1,0]
	v_pk_fma_f32 v[54:55], v[54:55], v[124:125], v[70:71] op_sel:[0,1,1] op_sel_hi:[1,1,0] neg_lo:[1,0,0] neg_hi:[1,0,0]
	v_mov_b32_e32 v73, v43
	s_waitcnt lgkmcnt(0)
	v_pk_mul_f32 v[42:43], v[44:45], v[126:127] op_sel_hi:[1,0]
	v_mov_b32_e32 v48, v127
	s_waitcnt vmcnt(0)
	v_pk_mul_f32 v[68:69], v[50:51], v[24:25] op_sel_hi:[1,0]
	v_mov_b32_e32 v67, v55
	v_pk_fma_f32 v[54:55], v[44:45], v[48:49], v[42:43] op_sel:[0,0,1] op_sel_hi:[1,0,0]
	v_pk_fma_f32 v[42:43], v[44:45], v[48:49], v[42:43] op_sel:[0,0,1] op_sel_hi:[1,0,0] neg_lo:[1,0,0] neg_hi:[1,0,0]
	v_pk_fma_f32 v[70:71], v[50:51], v[24:25], v[68:69] op_sel:[0,0,1] op_sel_hi:[1,1,0] neg_lo:[1,0,0] neg_hi:[1,0,0]
	v_mov_b32_e32 v55, v43
	v_pk_fma_f32 v[50:51], v[50:51], v[24:25], v[68:69] op_sel:[0,1,1] op_sel_hi:[1,1,0]
	v_pk_mul_f32 v[68:69], v[52:53], v[26:27] op_sel_hi:[1,0]
	v_mov_b32_e32 v70, v27
	v_pk_add_f32 v[42:43], v[72:73], v[54:55] neg_lo:[0,1] neg_hi:[0,1]
	v_pk_add_f32 v[54:55], v[72:73], v[54:55]
	v_pk_fma_f32 v[72:73], v[52:53], v[26:27], v[68:69] op_sel:[0,0,1] op_sel_hi:[1,1,0] neg_lo:[1,0,0] neg_hi:[1,0,0]
	v_pk_fma_f32 v[52:53], v[52:53], v[70:71], v[68:69] op_sel:[0,0,1] op_sel_hi:[1,0,0]
	v_mov_b32_e32 v59, v49
	v_mov_b32_e32 v51, v71
	;; [unrolled: 1-line block ×3, first 2 shown]
	v_pk_add_f32 v[44:45], v[58:59], v[66:67] neg_lo:[0,1] neg_hi:[0,1]
	v_pk_add_f32 v[68:69], v[50:51], v[52:53]
	v_pk_add_f32 v[50:51], v[52:53], v[50:51] neg_lo:[0,1] neg_hi:[0,1]
	v_mov_b32_e32 v71, v43
	v_mov_b32_e32 v70, v50
	;; [unrolled: 1-line block ×4, first 2 shown]
	v_pk_add_f32 v[58:59], v[58:59], v[66:67]
	v_pk_add_f32 v[52:53], v[50:51], v[44:45]
	v_pk_add_f32 v[70:71], v[70:71], v[72:73] neg_lo:[0,1] neg_hi:[0,1]
	v_mov_b32_e32 v72, v42
	v_mov_b32_e32 v51, v45
	v_pk_add_f32 v[48:49], v[44:45], v[42:43] neg_lo:[0,1] neg_hi:[0,1]
	v_pk_add_f32 v[44:45], v[72:73], v[50:51] neg_lo:[0,1] neg_hi:[0,1]
	v_mov_b32_e32 v72, v69
	v_mov_b32_e32 v73, v54
	;; [unrolled: 1-line block ×4, first 2 shown]
	v_pk_add_f32 v[66:67], v[58:59], v[54:55] neg_lo:[0,1] neg_hi:[0,1]
	v_pk_add_f32 v[42:43], v[52:53], v[42:43]
	v_pk_mul_f32 v[52:53], v[70:71], s[16:17]
	v_pk_add_f32 v[70:71], v[58:59], v[54:55]
	v_pk_add_f32 v[72:73], v[72:73], v[74:75] neg_lo:[0,1] neg_hi:[0,1]
	v_mov_b32_e32 v54, v55
	v_mov_b32_e32 v55, v68
	;; [unrolled: 1-line block ×4, first 2 shown]
	v_pk_add_f32 v[54:55], v[54:55], v[74:75] neg_lo:[0,1] neg_hi:[0,1]
	v_pk_mul_f32 v[50:51], v[44:45], s[0:1]
	v_pk_add_f32 v[58:59], v[68:69], v[70:71]
	v_pk_mul_f32 v[70:71], v[72:73], s[20:21]
	v_pk_mul_f32 v[72:73], v[54:55], s[22:23]
	v_pk_mul_f32 v[68:69], v[66:67], s[26:27] op_sel_hi:[1,0]
	v_pk_add_f32 v[40:41], v[40:41], v[58:59] op_sel:[0,1] op_sel_hi:[1,0]
	v_pk_fma_f32 v[54:55], v[54:55], s[22:23], v[70:71]
	v_mov_b32_e32 v74, v73
	v_mov_b32_e32 v75, v70
	;; [unrolled: 1-line block ×6, first 2 shown]
	v_pk_fma_f32 v[58:59], v[58:59], s[18:19], v[40:41] op_sel:[1,0,0] op_sel_hi:[0,0,1] neg_lo:[1,0,0] neg_hi:[1,0,0]
	v_pk_fma_f32 v[66:67], v[66:67], s[26:27], v[74:75] op_sel_hi:[1,0,1] neg_lo:[0,0,1] neg_hi:[0,0,1]
	v_pk_add_f32 v[68:69], v[72:73], v[68:69] op_sel:[0,1] op_sel_hi:[1,0] neg_lo:[1,1] neg_hi:[1,1]
	v_pk_fma_f32 v[44:45], v[44:45], s[0:1], v[52:53]
	v_pk_fma_f32 v[70:71], v[48:49], s[24:25], v[70:71] op_sel_hi:[1,0,1] neg_lo:[0,0,1] neg_hi:[0,0,1]
	v_pk_fma_f32 v[48:49], v[48:49], s[24:25], v[50:51] op_sel_hi:[1,0,1] neg_lo:[1,0,1] neg_hi:[1,0,1]
	v_pk_add_f32 v[50:51], v[54:55], v[58:59]
	v_pk_add_f32 v[52:53], v[66:67], v[58:59] op_sel:[1,0] op_sel_hi:[0,1]
	v_pk_add_f32 v[54:55], v[68:69], v[58:59]
	v_pk_fma_f32 v[44:45], v[42:43], s[14:15], v[44:45] op_sel_hi:[1,0,1]
	v_pk_fma_f32 v[58:59], v[42:43], s[14:15], v[70:71] op_sel_hi:[1,0,1]
	;; [unrolled: 1-line block ×3, first 2 shown]
	v_pk_add_f32 v[66:67], v[50:51], v[44:45]
	v_pk_add_f32 v[44:45], v[50:51], v[44:45] neg_lo:[0,1] neg_hi:[0,1]
	v_pk_add_f32 v[68:69], v[52:53], v[58:59]
	v_pk_add_f32 v[50:51], v[52:53], v[58:59] neg_lo:[0,1] neg_hi:[0,1]
	v_pk_add_f32 v[58:59], v[54:55], v[48:49] neg_lo:[0,1] neg_hi:[0,1]
	v_pk_add_f32 v[48:49], v[54:55], v[48:49]
	v_mov_b32_e32 v42, v66
	v_mov_b32_e32 v43, v45
	;; [unrolled: 1-line block ×9, first 2 shown]
	ds_write2_b64 v56, v[40:41], v[42:43] offset1:119
	ds_write2_b64 v57, v[48:49], v[50:51] offset0:110 offset1:229
	ds_write2_b64 v62, v[52:53], v[54:55] offset0:92 offset1:211
	ds_write_b64 v56, v[44:45] offset:5712
	s_waitcnt lgkmcnt(0)
	s_barrier
	s_and_saveexec_b64 s[0:1], s[2:3]
	s_cbranch_execz .LBB0_9
; %bb.8:
	v_mov_b32_e32 v57, 0
	v_lshl_add_u64 v[58:59], s[8:9], 0, v[56:57]
	s_mov_b64 s[10:11], 0x1a08
	v_lshl_add_u64 v[66:67], v[58:59], 0, s[10:11]
	global_load_dwordx2 v[70:71], v[66:67], off offset:392
	v_add_co_u32_e32 v68, vcc, 0x1000, v58
	s_movk_i32 s10, 0x2000
	s_nop 0
	v_addc_co_u32_e32 v69, vcc, 0, v59, vcc
	global_load_dwordx2 v[72:73], v[68:69], off offset:2568
	global_load_dwordx2 v[86:87], v[66:67], off offset:784
	;; [unrolled: 1-line block ×8, first 2 shown]
	v_add_co_u32_e32 v68, vcc, s10, v58
	s_movk_i32 s10, 0x3000
	s_nop 0
	v_addc_co_u32_e32 v69, vcc, 0, v59, vcc
	global_load_dwordx2 v[100:101], v[66:67], off offset:3528
	global_load_dwordx2 v[102:103], v[68:69], off offset:2784
	;; [unrolled: 1-line block ×5, first 2 shown]
	v_add_co_u32_e32 v58, vcc, s10, v58
	global_load_dwordx2 v[110:111], v[68:69], off offset:3960
	s_nop 0
	v_addc_co_u32_e32 v59, vcc, 0, v59, vcc
	global_load_dwordx2 v[112:113], v[58:59], off offset:256
	ds_read2_b64 v[66:69], v56 offset1:49
	global_load_dwordx2 v[58:59], v[58:59], off offset:648
	v_add_u32_e32 v16, 0x800, v56
	v_add_u32_e32 v17, 0x1000, v56
	s_waitcnt vmcnt(16) lgkmcnt(0)
	v_mul_f32_e32 v18, v69, v71
	v_mul_f32_e32 v75, v68, v71
	v_fma_f32 v74, v68, v70, -v18
	s_waitcnt vmcnt(15)
	v_mul_f32_e32 v19, v67, v73
	v_mul_f32_e32 v71, v66, v73
	v_fmac_f32_e32 v75, v69, v70
	v_fma_f32 v70, v66, v72, -v19
	v_fmac_f32_e32 v71, v67, v72
	ds_write2_b64 v56, v[70:71], v[74:75] offset1:49
	ds_read2_b64 v[66:69], v56 offset0:98 offset1:147
	ds_read2_b64 v[70:73], v56 offset0:196 offset1:245
	ds_read2_b64 v[74:77], v16 offset0:38 offset1:87
	ds_read2_b64 v[78:81], v16 offset0:136 offset1:185
	ds_read2_b64 v[82:85], v62 offset0:106 offset1:155
	s_waitcnt vmcnt(14) lgkmcnt(4)
	v_mul_f32_e32 v18, v67, v87
	v_mul_f32_e32 v115, v66, v87
	s_waitcnt vmcnt(13)
	v_mul_f32_e32 v19, v69, v89
	v_mul_f32_e32 v87, v68, v89
	s_waitcnt vmcnt(12) lgkmcnt(3)
	v_mul_f32_e32 v57, v71, v91
	v_mul_f32_e32 v89, v70, v91
	s_waitcnt vmcnt(11)
	v_mul_f32_e32 v63, v73, v93
	v_mul_f32_e32 v91, v72, v93
	;; [unrolled: 6-line block ×4, first 2 shown]
	v_fma_f32 v114, v66, v86, -v18
	v_fmac_f32_e32 v115, v67, v86
	v_fma_f32 v86, v68, v88, -v19
	v_fmac_f32_e32 v87, v69, v88
	;; [unrolled: 2-line block ×8, first 2 shown]
	ds_write2_b64 v56, v[114:115], v[86:87] offset0:98 offset1:147
	ds_write2_b64 v56, v[88:89], v[90:91] offset0:196 offset1:245
	;; [unrolled: 1-line block ×4, first 2 shown]
	ds_read2_b64 v[66:69], v17 offset0:76 offset1:125
	s_waitcnt vmcnt(5) lgkmcnt(5)
	v_mul_f32_e32 v119, v83, v105
	v_mul_f32_e32 v101, v82, v105
	;; [unrolled: 1-line block ×4, first 2 shown]
	v_fma_f32 v100, v82, v104, -v119
	v_fmac_f32_e32 v101, v83, v104
	v_fma_f32 v70, v84, v102, -v105
	v_fmac_f32_e32 v71, v85, v102
	ds_write2_b64 v62, v[100:101], v[70:71] offset0:106 offset1:155
	s_waitcnt vmcnt(4) lgkmcnt(1)
	v_mul_f32_e32 v16, v67, v107
	v_mul_f32_e32 v63, v66, v107
	ds_read2_b64 v[70:73], v17 offset0:174 offset1:223
	v_fma_f32 v62, v66, v106, -v16
	v_fmac_f32_e32 v63, v67, v106
	s_waitcnt vmcnt(3)
	v_mul_f32_e32 v16, v69, v109
	v_mul_f32_e32 v67, v68, v109
	v_fma_f32 v66, v68, v108, -v16
	v_fmac_f32_e32 v67, v69, v108
	ds_write2_b64 v17, v[62:63], v[66:67] offset0:76 offset1:125
	ds_read_b64 v[66:67], v56 offset:6272
	s_waitcnt vmcnt(2) lgkmcnt(2)
	v_mul_f32_e32 v16, v71, v111
	v_fma_f32 v62, v70, v110, -v16
	v_mul_f32_e32 v63, v70, v111
	s_waitcnt vmcnt(1)
	v_mul_f32_e32 v16, v73, v113
	v_mul_f32_e32 v69, v72, v113
	v_fmac_f32_e32 v63, v71, v110
	v_fma_f32 v68, v72, v112, -v16
	v_fmac_f32_e32 v69, v73, v112
	ds_write2_b64 v17, v[62:63], v[68:69] offset0:174 offset1:223
	s_waitcnt vmcnt(0) lgkmcnt(1)
	v_mul_f32_e32 v16, v67, v59
	v_mul_f32_e32 v63, v66, v59
	v_fma_f32 v62, v66, v58, -v16
	v_fmac_f32_e32 v63, v67, v58
	ds_write_b64 v56, v[62:63] offset:6272
.LBB0_9:
	s_or_b64 exec, exec, s[0:1]
	s_waitcnt lgkmcnt(0)
	s_barrier
	s_and_saveexec_b64 s[0:1], s[2:3]
	s_cbranch_execz .LBB0_11
; %bb.10:
	v_add_u32_e32 v12, 0x800, v56
	ds_read2_b64 v[40:43], v56 offset1:49
	ds_read2_b64 v[48:51], v56 offset0:98 offset1:147
	ds_read2_b64 v[52:55], v56 offset0:196 offset1:245
	;; [unrolled: 1-line block ×4, first 2 shown]
	v_add_u32_e32 v12, 0xc00, v56
	ds_read2_b64 v[32:35], v12 offset0:106 offset1:155
	v_add_u32_e32 v12, 0x1000, v56
	ds_read2_b64 v[28:31], v12 offset0:76 offset1:125
	ds_read2_b64 v[12:15], v12 offset0:174 offset1:223
	ds_read_b64 v[60:61], v56 offset:6272
.LBB0_11:
	s_or_b64 exec, exec, s[0:1]
	s_waitcnt lgkmcnt(0)
	s_barrier
	s_and_saveexec_b64 s[0:1], s[2:3]
	s_cbranch_execz .LBB0_13
; %bb.12:
	v_pk_add_f32 v[58:59], v[42:43], v[40:41]
	v_pk_add_f32 v[156:157], v[42:43], v[60:61] neg_lo:[0,1] neg_hi:[0,1]
	v_pk_add_f32 v[58:59], v[48:49], v[58:59]
	s_mov_b32 s28, 0xbeb8f4ab
	v_pk_add_f32 v[58:59], v[50:51], v[58:59]
	v_pk_add_f32 v[154:155], v[60:61], v[42:43]
	;; [unrolled: 1-line block ×5, first 2 shown]
	v_pk_add_f32 v[152:153], v[48:49], v[14:15] neg_lo:[0,1] neg_hi:[0,1]
	v_pk_add_f32 v[58:59], v[44:45], v[58:59]
	v_accvgpr_write_b32 a4, v124
	v_pk_add_f32 v[58:59], v[46:47], v[58:59]
	s_mov_b32 s18, 0x3f6eb680
	v_pk_add_f32 v[58:59], v[36:37], v[58:59]
	s_mov_b32 s42, 0xbf2c7751
	v_pk_add_f32 v[58:59], v[38:39], v[58:59]
	v_pk_add_f32 v[134:135], v[30:31], v[52:53]
	;; [unrolled: 1-line block ×3, first 2 shown]
	v_pk_add_f32 v[140:141], v[52:53], v[30:31] neg_lo:[0,1] neg_hi:[0,1]
	v_pk_add_f32 v[58:59], v[34:35], v[58:59]
	v_accvgpr_write_b32 a5, v125
	v_pk_add_f32 v[58:59], v[28:29], v[58:59]
	v_accvgpr_write_b32 a6, v126
	;; [unrolled: 2-line block ×3, first 2 shown]
	v_pk_add_f32 v[58:59], v[12:13], v[58:59]
	v_pk_add_f32 v[126:127], v[28:29], v[54:55]
	;; [unrolled: 1-line block ×3, first 2 shown]
	v_pk_mul_f32 v[14:15], v[156:157], s[28:29] op_sel_hi:[1,0]
	v_pk_add_f32 v[132:133], v[54:55], v[28:29] neg_lo:[0,1] neg_hi:[0,1]
	v_pk_fma_f32 v[28:29], v[154:155], s[18:19], v[14:15] op_sel:[0,0,1] op_sel_hi:[1,0,0]
	v_pk_fma_f32 v[246:247], v[154:155], s[18:19], v[14:15] op_sel:[0,0,1] op_sel_hi:[1,0,0] neg_lo:[0,0,1] neg_hi:[0,0,1]
	s_mov_b32 s16, 0x3f3d2fb0
	v_pk_mul_f32 v[30:31], v[152:153], s[42:43] op_sel_hi:[1,0]
	v_pk_add_f32 v[118:119], v[34:35], v[44:45]
	v_accvgpr_write_b32 a2, v120
	v_pk_add_f32 v[120:121], v[44:45], v[34:35] neg_lo:[0,1] neg_hi:[0,1]
	v_accvgpr_write_b32 a3, v29
	v_mov_b32_e32 v29, v247
	v_pk_fma_f32 v[34:35], v[150:151], s[16:17], v[30:31] op_sel:[0,0,1] op_sel_hi:[1,0,0]
	v_pk_fma_f32 v[242:243], v[150:151], s[16:17], v[30:31] op_sel:[0,0,1] op_sel_hi:[1,0,0] neg_lo:[0,0,1] neg_hi:[0,0,1]
	v_pk_add_f32 v[148:149], v[50:51], v[12:13] neg_lo:[0,1] neg_hi:[0,1]
	v_pk_add_f32 v[110:111], v[32:33], v[46:47]
	v_pk_add_f32 v[116:117], v[46:47], v[32:33] neg_lo:[0,1] neg_hi:[0,1]
	v_pk_add_f32 v[32:33], v[40:41], v[28:29]
	v_accvgpr_write_b32 a9, v35
	v_mov_b32_e32 v35, v243
	s_mov_b32 s50, 0xbf65296c
	v_pk_add_f32 v[142:143], v[12:13], v[50:51]
	v_pk_add_f32 v[102:103], v[38:39], v[36:37]
	v_pk_add_f32 v[104:105], v[36:37], v[38:39] neg_lo:[0,1] neg_hi:[0,1]
	v_pk_add_f32 v[36:37], v[34:35], v[32:33]
	s_mov_b32 s14, 0x3ee437d1
	v_pk_mul_f32 v[34:35], v[148:149], s[50:51] op_sel_hi:[1,0]
	s_mov_b32 s40, 0xbf7ee86f
	v_pk_fma_f32 v[38:39], v[142:143], s[14:15], v[34:35] op_sel:[0,0,1] op_sel_hi:[1,0,0]
	v_pk_fma_f32 v[238:239], v[142:143], s[14:15], v[34:35] op_sel:[0,0,1] op_sel_hi:[1,0,0] neg_lo:[0,0,1] neg_hi:[0,0,1]
	v_accvgpr_write_b32 a11, v39
	v_mov_b32_e32 v39, v239
	v_pk_add_f32 v[42:43], v[38:39], v[36:37]
	s_mov_b32 s10, 0x3dbcf732
	v_pk_mul_f32 v[38:39], v[140:141], s[40:41] op_sel_hi:[1,0]
	s_mov_b32 s22, 0xbf763a35
	v_pk_fma_f32 v[44:45], v[134:135], s[10:11], v[38:39] op_sel:[0,0,1] op_sel_hi:[1,0,0]
	v_pk_fma_f32 v[234:235], v[134:135], s[10:11], v[38:39] op_sel:[0,0,1] op_sel_hi:[1,0,0] neg_lo:[0,0,1] neg_hi:[0,0,1]
	v_accvgpr_write_b32 a13, v45
	v_mov_b32_e32 v45, v235
	;; [unrolled: 8-line block ×4, first 2 shown]
	v_pk_add_f32 v[54:55], v[52:53], v[50:51]
	s_mov_b32 s30, 0xbf59a7d5
	v_pk_mul_f32 v[52:53], v[116:117], s[34:35] op_sel_hi:[1,0]
	v_pk_add_f32 v[58:59], v[60:61], v[58:59]
	v_pk_fma_f32 v[60:61], v[110:111], s[30:31], v[52:53] op_sel:[0,0,1] op_sel_hi:[1,0,0]
	v_pk_fma_f32 v[52:53], v[110:111], s[30:31], v[52:53] op_sel:[0,0,1] op_sel_hi:[1,0,0] neg_lo:[0,0,1] neg_hi:[0,0,1]
	v_accvgpr_write_b32 a19, v61
	v_mov_b32_e32 v61, v53
	s_mov_b32 s38, 0xbe3c28d5
	v_pk_add_f32 v[62:63], v[60:61], v[54:55]
	s_mov_b32 s36, 0xbf7ba420
	v_pk_mul_f32 v[60:61], v[104:105], s[38:39] op_sel_hi:[1,0]
	v_lshlrev_b32_e32 v57, 3, v64
	v_pk_fma_f32 v[64:65], v[102:103], s[36:37], v[60:61] op_sel:[0,0,1] op_sel_hi:[1,0,0]
	v_pk_fma_f32 v[60:61], v[102:103], s[36:37], v[60:61] op_sel:[0,0,1] op_sel_hi:[1,0,0] neg_lo:[0,0,1] neg_hi:[0,0,1]
	v_accvgpr_write_b32 a21, v65
	v_mov_b32_e32 v65, v61
	v_pk_add_f32 v[62:63], v[64:65], v[62:63]
	ds_write2_b64 v57, v[58:59], v[62:63] offset1:1
	v_pk_mul_f32 v[58:59], v[156:157], s[42:43] op_sel_hi:[1,0]
	v_pk_mul_f32 v[68:69], v[152:153], s[40:41] op_sel_hi:[1,0]
	v_pk_fma_f32 v[12:13], v[154:155], s[16:17], v[58:59] op_sel:[0,0,1] op_sel_hi:[1,0,0]
	v_pk_fma_f32 v[64:65], v[154:155], s[16:17], v[58:59] op_sel:[0,0,1] op_sel_hi:[1,0,0] neg_lo:[0,0,1] neg_hi:[0,0,1]
	v_mov_b32_e32 v58, v12
	v_mov_b32_e32 v59, v65
	v_pk_fma_f32 v[70:71], v[150:151], s[10:11], v[68:69] op_sel:[0,0,1] op_sel_hi:[1,0,0]
	v_pk_fma_f32 v[68:69], v[150:151], s[10:11], v[68:69] op_sel:[0,0,1] op_sel_hi:[1,0,0] neg_lo:[0,0,1] neg_hi:[0,0,1]
	v_pk_mul_f32 v[72:73], v[148:149], s[26:27] op_sel_hi:[1,0]
	v_pk_add_f32 v[58:59], v[40:41], v[58:59]
	v_mov_b32_e32 v61, v71
	v_mov_b32_e32 v71, v69
	v_pk_fma_f32 v[74:75], v[142:143], s[24:25], v[72:73] op_sel:[0,0,1] op_sel_hi:[1,0,0]
	v_pk_fma_f32 v[72:73], v[142:143], s[24:25], v[72:73] op_sel:[0,0,1] op_sel_hi:[1,0,0] neg_lo:[0,0,1] neg_hi:[0,0,1]
	v_pk_mul_f32 v[76:77], v[140:141], s[38:39] op_sel_hi:[1,0]
	s_mov_b32 s54, 0x3f06c442
	v_pk_add_f32 v[58:59], v[70:71], v[58:59]
	v_mov_b32_e32 v67, v75
	v_mov_b32_e32 v75, v73
	v_pk_fma_f32 v[78:79], v[134:135], s[36:37], v[76:77] op_sel:[0,0,1] op_sel_hi:[1,0,0]
	v_pk_fma_f32 v[76:77], v[134:135], s[36:37], v[76:77] op_sel:[0,0,1] op_sel_hi:[1,0,0] neg_lo:[0,0,1] neg_hi:[0,0,1]
	v_pk_mul_f32 v[80:81], v[132:133], s[54:55] op_sel_hi:[1,0]
	s_mov_b32 s52, 0x3f763a35
	;; [unrolled: 7-line block ×3, first 2 shown]
	v_pk_add_f32 v[58:59], v[78:79], v[58:59]
	v_mov_b32_e32 v235, v83
	v_mov_b32_e32 v83, v81
	v_pk_fma_f32 v[86:87], v[118:119], s[20:21], v[84:85] op_sel:[0,0,1] op_sel_hi:[1,0,0]
	v_pk_fma_f32 v[84:85], v[118:119], s[20:21], v[84:85] op_sel:[0,0,1] op_sel_hi:[1,0,0] neg_lo:[0,0,1] neg_hi:[0,0,1]
	v_pk_mul_f32 v[88:89], v[116:117], s[44:45] op_sel_hi:[1,0]
	v_pk_add_f32 v[58:59], v[82:83], v[58:59]
	v_mov_b32_e32 v239, v87
	v_mov_b32_e32 v87, v85
	v_pk_fma_f32 v[90:91], v[110:111], s[14:15], v[88:89] op_sel:[0,0,1] op_sel_hi:[1,0,0]
	v_pk_fma_f32 v[88:89], v[110:111], s[14:15], v[88:89] op_sel:[0,0,1] op_sel_hi:[1,0,0] neg_lo:[0,0,1] neg_hi:[0,0,1]
	s_mov_b32 s46, 0x3eb8f4ab
	v_pk_add_f32 v[58:59], v[86:87], v[58:59]
	v_mov_b32_e32 v243, v91
	v_mov_b32_e32 v91, v89
	v_pk_mul_f32 v[92:93], v[104:105], s[46:47] op_sel_hi:[1,0]
	v_pk_add_f32 v[58:59], v[90:91], v[58:59]
	v_pk_fma_f32 v[90:91], v[102:103], s[18:19], v[92:93] op_sel:[0,0,1] op_sel_hi:[1,0,0]
	v_pk_fma_f32 v[92:93], v[102:103], s[18:19], v[92:93] op_sel:[0,0,1] op_sel_hi:[1,0,0] neg_lo:[0,0,1] neg_hi:[0,0,1]
	v_mov_b32_e32 v94, v90
	v_mov_b32_e32 v95, v93
	v_pk_mul_f32 v[96:97], v[156:157], s[50:51] op_sel_hi:[1,0]
	v_pk_add_f32 v[58:59], v[94:95], v[58:59]
	v_pk_fma_f32 v[94:95], v[154:155], s[14:15], v[96:97] op_sel:[0,0,1] op_sel_hi:[1,0,0]
	v_pk_fma_f32 v[96:97], v[154:155], s[14:15], v[96:97] op_sel:[0,0,1] op_sel_hi:[1,0,0] neg_lo:[0,0,1] neg_hi:[0,0,1]
	;; [unrolled: 6-line block ×3, first 2 shown]
	v_mov_b32_e32 v108, v98
	v_mov_b32_e32 v109, v101
	s_mov_b32 s48, 0x3e3c28d5
	v_pk_add_f32 v[112:113], v[108:109], v[106:107]
	v_pk_mul_f32 v[108:109], v[148:149], s[48:49] op_sel_hi:[1,0]
	s_mov_b32 s48, 0x3f2c7751
	v_pk_fma_f32 v[106:107], v[142:143], s[36:37], v[108:109] op_sel:[0,0,1] op_sel_hi:[1,0,0]
	v_pk_fma_f32 v[108:109], v[142:143], s[36:37], v[108:109] op_sel:[0,0,1] op_sel_hi:[1,0,0] neg_lo:[0,0,1] neg_hi:[0,0,1]
	v_mov_b32_e32 v114, v106
	v_mov_b32_e32 v115, v109
	v_pk_add_f32 v[122:123], v[114:115], v[112:113]
	v_pk_mul_f32 v[114:115], v[140:141], s[52:53] op_sel_hi:[1,0]
	v_pk_mul_f32 v[164:165], v[152:153], s[38:39] op_sel_hi:[1,0]
	v_pk_fma_f32 v[112:113], v[134:135], s[20:21], v[114:115] op_sel:[0,0,1] op_sel_hi:[1,0,0]
	v_pk_fma_f32 v[114:115], v[134:135], s[20:21], v[114:115] op_sel:[0,0,1] op_sel_hi:[1,0,0] neg_lo:[0,0,1] neg_hi:[0,0,1]
	v_mov_b32_e32 v124, v112
	v_mov_b32_e32 v125, v115
	v_pk_add_f32 v[128:129], v[124:125], v[122:123]
	v_pk_mul_f32 v[124:125], v[132:133], s[48:49] op_sel_hi:[1,0]
	v_pk_fma_f32 v[86:87], v[150:151], s[36:37], v[164:165] op_sel:[0,0,1] op_sel_hi:[1,0,0]
	v_pk_fma_f32 v[122:123], v[126:127], s[16:17], v[124:125] op_sel:[0,0,1] op_sel_hi:[1,0,0]
	v_pk_fma_f32 v[124:125], v[126:127], s[16:17], v[124:125] op_sel:[0,0,1] op_sel_hi:[1,0,0] neg_lo:[0,0,1] neg_hi:[0,0,1]
	v_mov_b32_e32 v130, v122
	v_mov_b32_e32 v131, v125
	v_pk_add_f32 v[136:137], v[130:131], v[128:129]
	v_pk_mul_f32 v[130:131], v[120:121], s[28:29] op_sel_hi:[1,0]
	v_pk_fma_f32 v[164:165], v[150:151], s[36:37], v[164:165] op_sel:[0,0,1] op_sel_hi:[1,0,0] neg_lo:[0,0,1] neg_hi:[0,0,1]
	v_pk_fma_f32 v[128:129], v[118:119], s[18:19], v[130:131] op_sel:[0,0,1] op_sel_hi:[1,0,0]
	v_pk_fma_f32 v[130:131], v[118:119], s[18:19], v[130:131] op_sel:[0,0,1] op_sel_hi:[1,0,0] neg_lo:[0,0,1] neg_hi:[0,0,1]
	v_mov_b32_e32 v138, v128
	v_mov_b32_e32 v139, v131
	v_pk_add_f32 v[144:145], v[138:139], v[136:137]
	v_pk_mul_f32 v[138:139], v[116:117], s[40:41] op_sel_hi:[1,0]
	v_mov_b32_e32 v166, v86
	v_pk_fma_f32 v[136:137], v[110:111], s[10:11], v[138:139] op_sel:[0,0,1] op_sel_hi:[1,0,0]
	v_pk_fma_f32 v[138:139], v[110:111], s[10:11], v[138:139] op_sel:[0,0,1] op_sel_hi:[1,0,0] neg_lo:[0,0,1] neg_hi:[0,0,1]
	v_mov_b32_e32 v146, v136
	v_mov_b32_e32 v147, v139
	v_pk_add_f32 v[158:159], v[146:147], v[144:145]
	v_pk_mul_f32 v[146:147], v[104:105], s[34:35] op_sel_hi:[1,0]
	v_mov_b32_e32 v167, v165
	v_pk_fma_f32 v[144:145], v[102:103], s[30:31], v[146:147] op_sel:[0,0,1] op_sel_hi:[1,0,0]
	v_pk_fma_f32 v[146:147], v[102:103], s[30:31], v[146:147] op_sel:[0,0,1] op_sel_hi:[1,0,0] neg_lo:[0,0,1] neg_hi:[0,0,1]
	v_mov_b32_e32 v160, v144
	v_mov_b32_e32 v161, v147
	v_pk_add_f32 v[158:159], v[160:161], v[158:159]
	ds_write2_b64 v57, v[58:59], v[158:159] offset0:2 offset1:3
	v_pk_mul_f32 v[58:59], v[156:157], s[40:41] op_sel_hi:[1,0]
	v_pk_mul_f32 v[168:169], v[148:149], s[52:53] op_sel_hi:[1,0]
	v_pk_fma_f32 v[158:159], v[154:155], s[10:11], v[58:59] op_sel:[0,0,1] op_sel_hi:[1,0,0]
	v_pk_fma_f32 v[160:161], v[154:155], s[10:11], v[58:59] op_sel:[0,0,1] op_sel_hi:[1,0,0] neg_lo:[0,0,1] neg_hi:[0,0,1]
	v_mov_b32_e32 v58, v158
	v_mov_b32_e32 v59, v161
	v_pk_add_f32 v[58:59], v[40:41], v[58:59]
	v_pk_mul_f32 v[172:173], v[140:141], s[46:47] op_sel_hi:[1,0]
	v_pk_add_f32 v[58:59], v[166:167], v[58:59]
	v_pk_fma_f32 v[166:167], v[142:143], s[20:21], v[168:169] op_sel:[0,0,1] op_sel_hi:[1,0,0]
	v_pk_fma_f32 v[168:169], v[142:143], s[20:21], v[168:169] op_sel:[0,0,1] op_sel_hi:[1,0,0] neg_lo:[0,0,1] neg_hi:[0,0,1]
	v_mov_b32_e32 v170, v166
	v_mov_b32_e32 v171, v169
	v_pk_add_f32 v[58:59], v[170:171], v[58:59]
	v_pk_fma_f32 v[170:171], v[134:135], s[18:19], v[172:173] op_sel:[0,0,1] op_sel_hi:[1,0,0]
	v_pk_fma_f32 v[172:173], v[134:135], s[18:19], v[172:173] op_sel:[0,0,1] op_sel_hi:[1,0,0] neg_lo:[0,0,1] neg_hi:[0,0,1]
	v_mov_b32_e32 v174, v170
	v_mov_b32_e32 v175, v173
	v_pk_mul_f32 v[176:177], v[132:133], s[50:51] op_sel_hi:[1,0]
	v_pk_add_f32 v[58:59], v[174:175], v[58:59]
	v_pk_fma_f32 v[174:175], v[126:127], s[14:15], v[176:177] op_sel:[0,0,1] op_sel_hi:[1,0,0]
	v_pk_fma_f32 v[176:177], v[126:127], s[14:15], v[176:177] op_sel:[0,0,1] op_sel_hi:[1,0,0] neg_lo:[0,0,1] neg_hi:[0,0,1]
	v_mov_b32_e32 v178, v174
	v_mov_b32_e32 v179, v177
	v_pk_mul_f32 v[180:181], v[120:121], s[34:35] op_sel_hi:[1,0]
	v_pk_add_f32 v[58:59], v[178:179], v[58:59]
	v_pk_fma_f32 v[178:179], v[118:119], s[30:31], v[180:181] op_sel:[0,0,1] op_sel_hi:[1,0,0]
	v_pk_fma_f32 v[180:181], v[118:119], s[30:31], v[180:181] op_sel:[0,0,1] op_sel_hi:[1,0,0] neg_lo:[0,0,1] neg_hi:[0,0,1]
	s_mov_b32 s56, 0x3f4c4adb
	v_mov_b32_e32 v182, v178
	v_mov_b32_e32 v183, v181
	v_pk_mul_f32 v[184:185], v[116:117], s[56:57] op_sel_hi:[1,0]
	v_pk_add_f32 v[58:59], v[182:183], v[58:59]
	v_pk_fma_f32 v[182:183], v[110:111], s[24:25], v[184:185] op_sel:[0,0,1] op_sel_hi:[1,0,0]
	v_pk_fma_f32 v[184:185], v[110:111], s[24:25], v[184:185] op_sel:[0,0,1] op_sel_hi:[1,0,0] neg_lo:[0,0,1] neg_hi:[0,0,1]
	v_mov_b32_e32 v186, v182
	v_mov_b32_e32 v187, v185
	v_pk_mul_f32 v[188:189], v[104:105], s[48:49] op_sel_hi:[1,0]
	v_pk_add_f32 v[58:59], v[186:187], v[58:59]
	v_pk_fma_f32 v[186:187], v[102:103], s[16:17], v[188:189] op_sel:[0,0,1] op_sel_hi:[1,0,0]
	v_pk_fma_f32 v[188:189], v[102:103], s[16:17], v[188:189] op_sel:[0,0,1] op_sel_hi:[1,0,0] neg_lo:[0,0,1] neg_hi:[0,0,1]
	;; [unrolled: 6-line block ×4, first 2 shown]
	v_mov_b32_e32 v200, v194
	v_mov_b32_e32 v201, v197
	v_pk_add_f32 v[202:203], v[200:201], v[198:199]
	v_pk_mul_f32 v[200:201], v[148:149], s[48:49] op_sel_hi:[1,0]
	v_pk_mul_f32 v[228:229], v[152:153], s[52:53] op_sel_hi:[1,0]
	v_pk_fma_f32 v[198:199], v[142:143], s[16:17], v[200:201] op_sel:[0,0,1] op_sel_hi:[1,0,0]
	v_pk_fma_f32 v[200:201], v[142:143], s[16:17], v[200:201] op_sel:[0,0,1] op_sel_hi:[1,0,0] neg_lo:[0,0,1] neg_hi:[0,0,1]
	v_mov_b32_e32 v204, v198
	v_mov_b32_e32 v205, v201
	v_pk_add_f32 v[206:207], v[204:205], v[202:203]
	v_pk_mul_f32 v[204:205], v[140:141], s[50:51] op_sel_hi:[1,0]
	s_mov_b32 s50, 0x3f7ee86f
	v_pk_fma_f32 v[202:203], v[134:135], s[14:15], v[204:205] op_sel:[0,0,1] op_sel_hi:[1,0,0]
	v_pk_fma_f32 v[204:205], v[134:135], s[14:15], v[204:205] op_sel:[0,0,1] op_sel_hi:[1,0,0] neg_lo:[0,0,1] neg_hi:[0,0,1]
	v_mov_b32_e32 v208, v202
	v_mov_b32_e32 v209, v205
	v_pk_add_f32 v[210:211], v[208:209], v[206:207]
	v_pk_mul_f32 v[208:209], v[132:133], s[38:39] op_sel_hi:[1,0]
	v_pk_fma_f32 v[82:83], v[150:151], s[20:21], v[228:229] op_sel:[0,0,1] op_sel_hi:[1,0,0]
	v_pk_fma_f32 v[206:207], v[126:127], s[36:37], v[208:209] op_sel:[0,0,1] op_sel_hi:[1,0,0]
	v_pk_fma_f32 v[208:209], v[126:127], s[36:37], v[208:209] op_sel:[0,0,1] op_sel_hi:[1,0,0] neg_lo:[0,0,1] neg_hi:[0,0,1]
	v_mov_b32_e32 v212, v206
	v_mov_b32_e32 v213, v209
	v_pk_add_f32 v[214:215], v[212:213], v[210:211]
	v_pk_mul_f32 v[212:213], v[120:121], s[50:51] op_sel_hi:[1,0]
	v_pk_fma_f32 v[228:229], v[150:151], s[20:21], v[228:229] op_sel:[0,0,1] op_sel_hi:[1,0,0] neg_lo:[0,0,1] neg_hi:[0,0,1]
	v_pk_fma_f32 v[210:211], v[118:119], s[10:11], v[212:213] op_sel:[0,0,1] op_sel_hi:[1,0,0]
	v_pk_fma_f32 v[212:213], v[118:119], s[10:11], v[212:213] op_sel:[0,0,1] op_sel_hi:[1,0,0] neg_lo:[0,0,1] neg_hi:[0,0,1]
	v_mov_b32_e32 v216, v210
	v_mov_b32_e32 v217, v213
	v_pk_add_f32 v[218:219], v[216:217], v[214:215]
	v_pk_mul_f32 v[216:217], v[116:117], s[28:29] op_sel_hi:[1,0]
	v_mov_b32_e32 v232, v82
	v_pk_fma_f32 v[214:215], v[110:111], s[18:19], v[216:217] op_sel:[0,0,1] op_sel_hi:[1,0,0]
	v_pk_fma_f32 v[216:217], v[110:111], s[18:19], v[216:217] op_sel:[0,0,1] op_sel_hi:[1,0,0] neg_lo:[0,0,1] neg_hi:[0,0,1]
	v_mov_b32_e32 v220, v214
	v_mov_b32_e32 v221, v217
	v_pk_add_f32 v[224:225], v[220:221], v[218:219]
	v_pk_mul_f32 v[220:221], v[104:105], s[26:27] op_sel_hi:[1,0]
	v_mov_b32_e32 v233, v229
	v_pk_fma_f32 v[218:219], v[102:103], s[24:25], v[220:221] op_sel:[0,0,1] op_sel_hi:[1,0,0]
	v_pk_fma_f32 v[220:221], v[102:103], s[24:25], v[220:221] op_sel:[0,0,1] op_sel_hi:[1,0,0] neg_lo:[0,0,1] neg_hi:[0,0,1]
	v_mov_b32_e32 v226, v218
	v_mov_b32_e32 v227, v221
	v_pk_add_f32 v[224:225], v[226:227], v[224:225]
	ds_write2_b64 v57, v[58:59], v[224:225] offset0:4 offset1:5
	v_pk_mul_f32 v[58:59], v[156:157], s[26:27] op_sel_hi:[1,0]
	v_pk_mul_f32 v[16:17], v[152:153], s[44:45] op_sel_hi:[1,0]
	v_pk_fma_f32 v[224:225], v[154:155], s[24:25], v[58:59] op_sel:[0,0,1] op_sel_hi:[1,0,0]
	v_pk_fma_f32 v[58:59], v[154:155], s[24:25], v[58:59] op_sel:[0,0,1] op_sel_hi:[1,0,0] neg_lo:[0,0,1] neg_hi:[0,0,1]
	v_mov_b32_e32 v226, v224
	v_mov_b32_e32 v227, v59
	v_pk_add_f32 v[226:227], v[40:41], v[226:227]
	v_pk_fma_f32 v[50:51], v[150:151], s[14:15], v[16:17] op_sel:[0,0,1] op_sel_hi:[1,0,0]
	v_pk_add_f32 v[226:227], v[232:233], v[226:227]
	v_pk_mul_f32 v[232:233], v[148:149], s[28:29] op_sel_hi:[1,0]
	v_pk_fma_f32 v[16:17], v[150:151], s[14:15], v[16:17] op_sel:[0,0,1] op_sel_hi:[1,0,0] neg_lo:[0,0,1] neg_hi:[0,0,1]
	v_pk_fma_f32 v[78:79], v[142:143], s[18:19], v[232:233] op_sel:[0,0,1] op_sel_hi:[1,0,0]
	v_pk_fma_f32 v[232:233], v[142:143], s[18:19], v[232:233] op_sel:[0,0,1] op_sel_hi:[1,0,0] neg_lo:[0,0,1] neg_hi:[0,0,1]
	v_mov_b32_e32 v236, v78
	v_mov_b32_e32 v237, v233
	v_pk_add_f32 v[226:227], v[236:237], v[226:227]
	v_pk_mul_f32 v[236:237], v[140:141], s[34:35] op_sel_hi:[1,0]
	v_mov_b32_e32 v18, v50
	v_pk_fma_f32 v[74:75], v[134:135], s[30:31], v[236:237] op_sel:[0,0,1] op_sel_hi:[1,0,0]
	v_pk_fma_f32 v[236:237], v[134:135], s[30:31], v[236:237] op_sel:[0,0,1] op_sel_hi:[1,0,0] neg_lo:[0,0,1] neg_hi:[0,0,1]
	v_mov_b32_e32 v240, v74
	v_mov_b32_e32 v241, v237
	v_pk_add_f32 v[226:227], v[240:241], v[226:227]
	v_pk_mul_f32 v[240:241], v[132:133], s[50:51] op_sel_hi:[1,0]
	v_mov_b32_e32 v19, v17
	;; [unrolled: 7-line block ×3, first 2 shown]
	v_pk_fma_f32 v[62:63], v[118:119], s[16:17], v[244:245] op_sel:[0,0,1] op_sel_hi:[1,0,0]
	v_pk_fma_f32 v[244:245], v[118:119], s[16:17], v[244:245] op_sel:[0,0,1] op_sel_hi:[1,0,0] neg_lo:[0,0,1] neg_hi:[0,0,1]
	v_mov_b32_e32 v248, v62
	v_mov_b32_e32 v249, v245
	v_pk_add_f32 v[226:227], v[248:249], v[226:227]
	v_pk_mul_f32 v[248:249], v[116:117], s[38:39] op_sel_hi:[1,0]
	v_pk_mul_f32 v[152:153], v[152:153], s[46:47] op_sel_hi:[1,0]
	v_pk_fma_f32 v[250:251], v[110:111], s[36:37], v[248:249] op_sel:[0,0,1] op_sel_hi:[1,0,0]
	v_pk_fma_f32 v[248:249], v[110:111], s[36:37], v[248:249] op_sel:[0,0,1] op_sel_hi:[1,0,0] neg_lo:[0,0,1] neg_hi:[0,0,1]
	v_mov_b32_e32 v252, v250
	v_mov_b32_e32 v253, v249
	v_pk_add_f32 v[226:227], v[252:253], v[226:227]
	v_pk_mul_f32 v[252:253], v[104:105], s[44:45] op_sel_hi:[1,0]
	v_mov_b32_e32 v17, v51
	v_pk_fma_f32 v[54:55], v[102:103], s[14:15], v[252:253] op_sel:[0,0,1] op_sel_hi:[1,0,0]
	v_pk_fma_f32 v[252:253], v[102:103], s[14:15], v[252:253] op_sel:[0,0,1] op_sel_hi:[1,0,0] neg_lo:[0,0,1] neg_hi:[0,0,1]
	v_mov_b32_e32 v254, v54
	v_mov_b32_e32 v255, v253
	v_pk_add_f32 v[226:227], v[254:255], v[226:227]
	v_pk_mul_f32 v[254:255], v[156:157], s[34:35] op_sel_hi:[1,0]
	v_mov_b32_e32 v59, v225
	v_pk_fma_f32 v[162:163], v[154:155], s[30:31], v[254:255] op_sel:[0,0,1] op_sel_hi:[1,0,0]
	v_pk_fma_f32 v[254:255], v[154:155], s[30:31], v[254:255] op_sel:[0,0,1] op_sel_hi:[1,0,0] neg_lo:[0,0,1] neg_hi:[0,0,1]
	v_mov_b32_e32 v222, v162
	v_mov_b32_e32 v223, v255
	v_pk_add_f32 v[222:223], v[40:41], v[222:223]
	v_mov_b32_e32 v255, v163
	v_pk_add_f32 v[18:19], v[18:19], v[222:223]
	v_pk_mul_f32 v[222:223], v[148:149], s[40:41] op_sel_hi:[1,0]
	v_pk_mul_f32 v[148:149], v[148:149], s[34:35] op_sel_hi:[1,0]
	v_pk_fma_f32 v[48:49], v[142:143], s[10:11], v[222:223] op_sel:[0,0,1] op_sel_hi:[1,0,0]
	v_pk_fma_f32 v[222:223], v[142:143], s[10:11], v[222:223] op_sel:[0,0,1] op_sel_hi:[1,0,0] neg_lo:[0,0,1] neg_hi:[0,0,1]
	v_mov_b32_e32 v12, v48
	v_mov_b32_e32 v13, v223
	v_pk_add_f32 v[12:13], v[12:13], v[18:19]
	v_pk_mul_f32 v[18:19], v[140:141], s[56:57] op_sel_hi:[1,0]
	v_pk_mul_f32 v[140:141], v[140:141], s[48:49] op_sel_hi:[1,0]
	v_pk_fma_f32 v[46:47], v[134:135], s[24:25], v[18:19] op_sel:[0,0,1] op_sel_hi:[1,0,0]
	v_pk_fma_f32 v[18:19], v[134:135], s[24:25], v[18:19] op_sel:[0,0,1] op_sel_hi:[1,0,0] neg_lo:[0,0,1] neg_hi:[0,0,1]
	v_mov_b32_e32 v14, v46
	;; [unrolled: 7-line block ×6, first 2 shown]
	v_mov_b32_e32 v35, v33
	v_pk_add_f32 v[12:13], v[34:35], v[12:13]
	ds_write2_b64 v57, v[226:227], v[12:13] offset0:6 offset1:7
	v_pk_mul_f32 v[12:13], v[156:157], s[38:39] op_sel_hi:[1,0]
	v_mov_b32_e32 v223, v49
	v_pk_fma_f32 v[34:35], v[154:155], s[36:37], v[12:13] op_sel:[0,0,1] op_sel_hi:[1,0,0]
	v_pk_fma_f32 v[12:13], v[154:155], s[36:37], v[12:13] op_sel:[0,0,1] op_sel_hi:[1,0,0] neg_lo:[0,0,1] neg_hi:[0,0,1]
	v_pk_fma_f32 v[154:155], v[150:151], s[18:19], v[152:153] op_sel:[0,0,1] op_sel_hi:[1,0,0]
	v_pk_fma_f32 v[150:151], v[150:151], s[18:19], v[152:153] op_sel:[0,0,1] op_sel_hi:[1,0,0] neg_lo:[0,0,1] neg_hi:[0,0,1]
	v_mov_b32_e32 v152, v34
	v_mov_b32_e32 v153, v13
	v_pk_add_f32 v[152:153], v[40:41], v[152:153]
	v_mov_b32_e32 v156, v154
	v_mov_b32_e32 v157, v151
	v_pk_add_f32 v[152:153], v[156:157], v[152:153]
	v_pk_fma_f32 v[156:157], v[142:143], s[30:31], v[148:149] op_sel:[0,0,1] op_sel_hi:[1,0,0]
	v_pk_fma_f32 v[142:143], v[142:143], s[30:31], v[148:149] op_sel:[0,0,1] op_sel_hi:[1,0,0] neg_lo:[0,0,1] neg_hi:[0,0,1]
	v_mov_b32_e32 v148, v156
	v_mov_b32_e32 v149, v143
	v_pk_add_f32 v[148:149], v[148:149], v[152:153]
	v_pk_fma_f32 v[152:153], v[134:135], s[16:17], v[140:141] op_sel:[0,0,1] op_sel_hi:[1,0,0]
	v_pk_fma_f32 v[134:135], v[134:135], s[16:17], v[140:141] op_sel:[0,0,1] op_sel_hi:[1,0,0] neg_lo:[0,0,1] neg_hi:[0,0,1]
	;; [unrolled: 5-line block ×3, first 2 shown]
	v_mov_b32_e32 v13, v35
	v_mov_b32_e32 v132, v148
	;; [unrolled: 1-line block ×4, first 2 shown]
	v_pk_add_f32 v[12:13], v[40:41], v[12:13]
	v_pk_add_f32 v[132:133], v[132:133], v[140:141]
	v_pk_fma_f32 v[140:141], v[118:119], s[14:15], v[120:121] op_sel:[0,0,1] op_sel_hi:[1,0,0]
	v_pk_fma_f32 v[118:119], v[118:119], s[14:15], v[120:121] op_sel:[0,0,1] op_sel_hi:[1,0,0] neg_lo:[0,0,1] neg_hi:[0,0,1]
	v_pk_add_f32 v[12:13], v[150:151], v[12:13]
	v_mov_b32_e32 v143, v157
	v_mov_b32_e32 v120, v140
	v_mov_b32_e32 v121, v119
	v_pk_add_f32 v[12:13], v[142:143], v[12:13]
	v_mov_b32_e32 v135, v153
	v_pk_add_f32 v[120:121], v[120:121], v[132:133]
	v_pk_fma_f32 v[132:133], v[110:111], s[20:21], v[116:117] op_sel:[0,0,1] op_sel_hi:[1,0,0]
	v_pk_fma_f32 v[110:111], v[110:111], s[20:21], v[116:117] op_sel:[0,0,1] op_sel_hi:[1,0,0] neg_lo:[0,0,1] neg_hi:[0,0,1]
	v_pk_add_f32 v[12:13], v[134:135], v[12:13]
	v_mov_b32_e32 v127, v149
	v_mov_b32_e32 v116, v132
	v_mov_b32_e32 v117, v111
	v_pk_add_f32 v[12:13], v[126:127], v[12:13]
	v_mov_b32_e32 v119, v141
	;; [unrolled: 9-line block ×3, first 2 shown]
	v_pk_add_f32 v[104:105], v[104:105], v[116:117]
	v_pk_add_f32 v[12:13], v[102:103], v[12:13]
	ds_write2_b64 v57, v[104:105], v[12:13] offset0:8 offset1:9
	v_pk_add_f32 v[12:13], v[40:41], v[254:255]
	v_mov_b32_e32 v19, v47
	v_pk_add_f32 v[12:13], v[16:17], v[12:13]
	v_mov_b32_e32 v15, v45
	v_pk_add_f32 v[12:13], v[222:223], v[12:13]
	v_mov_b32_e32 v229, v83
	v_pk_add_f32 v[12:13], v[18:19], v[12:13]
	v_mov_b32_e32 v233, v79
	v_pk_add_f32 v[12:13], v[14:15], v[12:13]
	v_pk_add_f32 v[14:15], v[40:41], v[58:59]
	v_mov_b32_e32 v237, v75
	v_pk_add_f32 v[14:15], v[228:229], v[14:15]
	v_mov_b32_e32 v241, v71
	v_pk_add_f32 v[14:15], v[232:233], v[14:15]
	v_mov_b32_e32 v29, v43
	v_pk_add_f32 v[14:15], v[236:237], v[14:15]
	v_mov_b32_e32 v245, v63
	v_pk_add_f32 v[14:15], v[240:241], v[14:15]
	;; [unrolled: 9-line block ×3, first 2 shown]
	v_pk_add_f32 v[14:15], v[252:253], v[14:15]
	v_mov_b32_e32 v193, v191
	v_mov_b32_e32 v161, v159
	ds_write2_b64 v57, v[12:13], v[14:15] offset0:10 offset1:11
	v_pk_add_f32 v[12:13], v[40:41], v[192:193]
	v_mov_b32_e32 v197, v195
	v_pk_add_f32 v[14:15], v[40:41], v[160:161]
	v_mov_b32_e32 v165, v87
	;; [unrolled: 2-line block ×14, first 2 shown]
	v_pk_add_f32 v[12:13], v[220:221], v[12:13]
	v_pk_add_f32 v[14:15], v[188:189], v[14:15]
	v_mov_b32_e32 v97, v95
	v_mov_b32_e32 v65, v53
	ds_write2_b64 v57, v[12:13], v[14:15] offset0:12 offset1:13
	v_pk_add_f32 v[12:13], v[40:41], v[96:97]
	v_mov_b32_e32 v101, v99
	v_pk_add_f32 v[14:15], v[40:41], v[64:65]
	v_mov_b32_e32 v69, v61
	v_pk_add_f32 v[12:13], v[100:101], v[12:13]
	v_mov_b32_e32 v109, v107
	v_pk_add_f32 v[14:15], v[68:69], v[14:15]
	v_mov_b32_e32 v73, v67
	v_pk_add_f32 v[12:13], v[108:109], v[12:13]
	v_mov_b32_e32 v115, v113
	v_pk_add_f32 v[14:15], v[72:73], v[14:15]
	v_mov_b32_e32 v77, v231
	v_pk_add_f32 v[12:13], v[114:115], v[12:13]
	v_mov_b32_e32 v125, v123
	v_pk_add_f32 v[14:15], v[76:77], v[14:15]
	v_mov_b32_e32 v81, v235
	v_pk_add_f32 v[12:13], v[124:125], v[12:13]
	v_mov_b32_e32 v131, v129
	v_pk_add_f32 v[14:15], v[80:81], v[14:15]
	v_mov_b32_e32 v85, v239
	v_pk_add_f32 v[12:13], v[130:131], v[12:13]
	v_mov_b32_e32 v139, v137
	v_pk_add_f32 v[14:15], v[84:85], v[14:15]
	v_mov_b32_e32 v89, v243
	v_pk_add_f32 v[12:13], v[138:139], v[12:13]
	v_mov_b32_e32 v147, v145
	v_pk_add_f32 v[14:15], v[88:89], v[14:15]
	v_mov_b32_e32 v93, v91
	v_pk_add_f32 v[12:13], v[146:147], v[12:13]
	v_pk_add_f32 v[14:15], v[92:93], v[14:15]
	v_accvgpr_read_b32 v247, a3
	ds_write2_b64 v57, v[12:13], v[14:15] offset0:14 offset1:15
	v_pk_add_f32 v[12:13], v[40:41], v[246:247]
	v_accvgpr_read_b32 v243, a9
	v_pk_add_f32 v[12:13], v[242:243], v[12:13]
	v_accvgpr_read_b32 v239, a11
	v_pk_add_f32 v[12:13], v[238:239], v[12:13]
	v_accvgpr_read_b32 v235, a13
	v_pk_add_f32 v[12:13], v[234:235], v[12:13]
	v_accvgpr_read_b32 v231, a15
	v_pk_add_f32 v[12:13], v[230:231], v[12:13]
	v_accvgpr_read_b32 v67, a17
	v_pk_add_f32 v[12:13], v[66:67], v[12:13]
	v_accvgpr_read_b32 v53, a19
	v_accvgpr_read_b32 v127, a7
	v_pk_add_f32 v[12:13], v[52:53], v[12:13]
	v_accvgpr_read_b32 v61, a21
	v_accvgpr_read_b32 v122, a1
	;; [unrolled: 1-line block ×6, first 2 shown]
	v_pk_add_f32 v[12:13], v[60:61], v[12:13]
	ds_write_b64 v57, v[12:13] offset:128
.LBB0_13:
	s_or_b64 exec, exec, s[0:1]
	v_add_u32_e32 v12, 0x400, v56
	s_waitcnt lgkmcnt(0)
	s_barrier
	ds_read2_b64 v[28:31], v12 offset0:110 offset1:229
	ds_read2_b64 v[32:35], v56 offset1:119
	v_add_u32_e32 v13, 0xc00, v56
	ds_read2_b64 v[36:39], v13 offset0:92 offset1:211
	ds_read_b64 v[14:15], v56 offset:5712
	v_mov_b32_e32 v18, v9
	s_waitcnt lgkmcnt(3)
	v_pk_mul_f32 v[40:41], v[8:9], v[30:31] op_sel:[0,1] op_sel_hi:[1,0]
	v_pk_mul_f32 v[16:17], v[8:9], v[30:31]
	v_mov_b32_e32 v40, v41
	s_waitcnt lgkmcnt(1)
	v_pk_mul_f32 v[42:43], v[10:11], v[36:37] op_sel:[0,1] op_sel_hi:[1,0]
	v_pk_fma_f32 v[8:9], v[8:9], v[30:31], v[40:41] op_sel:[0,1,0] op_sel_hi:[1,0,1] neg_lo:[0,0,1] neg_hi:[0,0,1]
	v_mov_b32_e32 v40, v11
	v_mov_b32_e32 v42, v43
	v_pk_mul_f32 v[18:19], v[18:19], v[30:31] op_sel:[0,1] op_sel_hi:[1,0]
	v_pk_mul_f32 v[30:31], v[10:11], v[36:37]
	v_pk_mul_f32 v[40:41], v[40:41], v[36:37] op_sel:[0,1] op_sel_hi:[1,0]
	v_pk_fma_f32 v[10:11], v[10:11], v[36:37], v[42:43] op_sel:[0,1,0] op_sel_hi:[1,0,1] neg_lo:[0,0,1] neg_hi:[0,0,1]
	v_mov_b32_e32 v36, v35
	v_pk_mul_f32 v[42:43], v[4:5], v[34:35] op_sel_hi:[1,0]
	s_mov_b32 s16, 0x3f08b237
	v_pk_fma_f32 v[36:37], v[4:5], v[36:37], v[42:43] op_sel:[0,0,1] op_sel_hi:[1,1,0] neg_lo:[0,0,1] neg_hi:[0,0,1]
	v_pk_fma_f32 v[4:5], v[4:5], v[34:35], v[42:43] op_sel:[0,1,1] op_sel_hi:[1,1,0]
	v_pk_mul_f32 v[34:35], v[6:7], v[28:29] op_sel_hi:[1,0]
	v_mov_b32_e32 v4, v29
	v_mov_b32_e32 v37, v5
	v_pk_fma_f32 v[4:5], v[6:7], v[4:5], v[34:35] op_sel:[0,0,1] op_sel_hi:[1,1,0] neg_lo:[0,0,1] neg_hi:[0,0,1]
	v_pk_fma_f32 v[6:7], v[6:7], v[28:29], v[34:35] op_sel:[0,1,1] op_sel_hi:[1,1,0]
	v_pk_mul_f32 v[28:29], v[0:1], v[38:39] op_sel_hi:[1,0]
	v_mov_b32_e32 v6, v39
	v_mov_b32_e32 v5, v7
	v_pk_fma_f32 v[6:7], v[0:1], v[6:7], v[28:29] op_sel:[0,0,1] op_sel_hi:[1,1,0] neg_lo:[0,0,1] neg_hi:[0,0,1]
	v_pk_fma_f32 v[0:1], v[0:1], v[38:39], v[28:29] op_sel:[0,1,1] op_sel_hi:[1,1,0]
	s_waitcnt lgkmcnt(0)
	v_pk_mul_f32 v[28:29], v[2:3], v[14:15] op_sel_hi:[1,0]
	v_mov_b32_e32 v0, v15
	v_mov_b32_e32 v7, v1
	v_pk_fma_f32 v[0:1], v[2:3], v[0:1], v[28:29] op_sel:[0,0,1] op_sel_hi:[1,1,0] neg_lo:[0,0,1] neg_hi:[0,0,1]
	v_pk_fma_f32 v[2:3], v[2:3], v[14:15], v[28:29] op_sel:[0,1,1] op_sel_hi:[1,1,0]
	v_mov_b32_e32 v31, v36
	v_mov_b32_e32 v1, v3
	;; [unrolled: 1-line block ×5, first 2 shown]
	v_pk_add_f32 v[2:3], v[36:37], v[0:1]
	v_pk_add_f32 v[14:15], v[36:37], v[0:1] neg_lo:[0,1] neg_hi:[0,1]
	v_pk_add_f32 v[28:29], v[4:5], v[6:7]
	v_pk_add_f32 v[34:35], v[4:5], v[6:7] neg_lo:[0,1] neg_hi:[0,1]
	v_pk_add_f32 v[0:1], v[30:31], v[40:41]
	v_pk_add_f32 v[4:5], v[16:17], v[18:19]
	v_mov_b32_e32 v11, v0
	v_mov_b32_e32 v9, v4
	v_pk_add_f32 v[6:7], v[10:11], v[8:9] neg_lo:[0,1] neg_hi:[0,1]
	v_mov_b32_e32 v36, v29
	v_mov_b32_e32 v37, v8
	;; [unrolled: 1-line block ×4, first 2 shown]
	v_pk_add_f32 v[8:9], v[36:37], v[8:9]
	v_pk_add_f32 v[10:11], v[4:5], v[0:1]
	v_mov_b32_e32 v16, v6
	v_mov_b32_e32 v17, v15
	;; [unrolled: 1-line block ×6, first 2 shown]
	s_mov_b32 s22, 0x3d64c772
	v_pk_add_f32 v[16:17], v[16:17], v[18:19] neg_lo:[0,1] neg_hi:[0,1]
	s_mov_b32 s17, 0xbeae86e6
	v_mov_b32_e32 v18, v14
	v_mov_b32_e32 v30, v6
	;; [unrolled: 1-line block ×3, first 2 shown]
	v_pk_add_f32 v[36:37], v[0:1], v[36:37] neg_lo:[0,1] neg_hi:[0,1]
	v_mov_b32_e32 v38, v3
	v_mov_b32_e32 v39, v9
	;; [unrolled: 1-line block ×3, first 2 shown]
	v_pk_add_f32 v[8:9], v[8:9], v[10:11]
	s_mov_b32 s23, 0x3f4a47b2
	v_pk_mul_f32 v[16:17], v[16:17], s[16:17]
	v_pk_add_f32 v[18:19], v[18:19], v[30:31] neg_lo:[0,1] neg_hi:[0,1]
	s_mov_b32 s10, s17
	s_mov_b32 s11, s16
	v_pk_add_f32 v[6:7], v[6:7], v[34:35]
	v_pk_add_f32 v[38:39], v[38:39], v[4:5] neg_lo:[0,1] neg_hi:[0,1]
	v_pk_add_f32 v[10:11], v[32:33], v[8:9]
	s_mov_b32 s20, 0x3f955555
	v_pk_mul_f32 v[32:33], v[36:37], s[22:23]
	s_mov_b32 s24, s23
	s_mov_b32 s25, s22
	v_pk_mul_f32 v[30:31], v[18:19], s[10:11]
	v_pk_add_f32 v[6:7], v[6:7], v[14:15]
	s_mov_b32 s0, 0xbee1c552
	v_pk_mul_f32 v[36:37], v[38:39], s[24:25]
	v_pk_fma_f32 v[8:9], v[8:9], s[20:21], v[10:11] op_sel_hi:[1,0,1] neg_lo:[1,0,0] neg_hi:[1,0,0]
	v_pk_fma_f32 v[38:39], v[38:39], s[24:25], v[32:33]
	v_pk_fma_f32 v[18:19], v[18:19], s[10:11], v[16:17]
	v_pk_add_f32 v[38:39], v[38:39], v[8:9]
	v_pk_fma_f32 v[18:19], v[6:7], s[0:1], v[18:19] op_sel_hi:[1,0,1]
	v_mov_b32_e32 v4, v29
	v_pk_add_f32 v[40:41], v[38:39], v[18:19]
	v_pk_add_f32 v[18:19], v[38:39], v[18:19] neg_lo:[0,1] neg_hi:[0,1]
	v_mov_b32_e32 v38, v40
	v_mov_b32_e32 v39, v19
	;; [unrolled: 1-line block ×3, first 2 shown]
	s_barrier
	ds_write2_b64 v120, v[10:11], v[38:39] offset1:17
	v_pk_add_f32 v[10:11], v[34:35], v[14:15] neg_lo:[0,1] neg_hi:[0,1]
	s_mov_b32 s14, 0xbf5ff5aa
	v_pk_add_f32 v[0:1], v[4:5], v[0:1] neg_lo:[0,1] neg_hi:[0,1]
	s_mov_b32 s18, 0x3f3bfb3b
	v_mov_b32_e32 v2, v36
	v_mov_b32_e32 v3, v33
	;; [unrolled: 1-line block ×6, first 2 shown]
	v_pk_fma_f32 v[2:3], v[0:1], s[18:19], v[2:3] op_sel_hi:[1,0,1] neg_lo:[1,0,1] neg_hi:[1,0,1]
	v_pk_fma_f32 v[4:5], v[10:11], s[14:15], v[4:5] op_sel_hi:[1,0,1] neg_lo:[1,0,1] neg_hi:[1,0,1]
	;; [unrolled: 1-line block ×4, first 2 shown]
	v_pk_add_f32 v[2:3], v[2:3], v[8:9]
	v_pk_fma_f32 v[4:5], v[6:7], s[0:1], v[4:5] op_sel_hi:[1,0,1]
	v_pk_add_f32 v[0:1], v[0:1], v[8:9]
	v_pk_fma_f32 v[6:7], v[6:7], s[0:1], v[10:11] op_sel_hi:[1,0,1]
	v_pk_add_f32 v[14:15], v[2:3], v[4:5]
	v_pk_add_f32 v[2:3], v[2:3], v[4:5] neg_lo:[0,1] neg_hi:[0,1]
	v_pk_add_f32 v[8:9], v[0:1], v[6:7] neg_lo:[0,1] neg_hi:[0,1]
	v_pk_add_f32 v[0:1], v[0:1], v[6:7]
	v_mov_b32_e32 v4, v14
	v_mov_b32_e32 v5, v3
	v_mov_b32_e32 v6, v8
	v_mov_b32_e32 v7, v1
	v_mov_b32_e32 v1, v9
	v_mov_b32_e32 v3, v15
	v_mov_b32_e32 v19, v41
	ds_write2_b64 v120, v[4:5], v[6:7] offset0:34 offset1:51
	ds_write2_b64 v120, v[0:1], v[2:3] offset0:68 offset1:85
	ds_write_b64 v120, v[18:19] offset:816
	s_waitcnt lgkmcnt(0)
	s_barrier
	ds_read2_b64 v[0:3], v12 offset0:110 offset1:229
	ds_read2_b64 v[4:7], v56 offset1:119
	ds_read2_b64 v[8:11], v13 offset0:92 offset1:211
	ds_read_b64 v[14:15], v56 offset:5712
	v_mov_b32_e32 v18, v25
	s_waitcnt lgkmcnt(3)
	v_pk_mul_f32 v[28:29], v[24:25], v[2:3] op_sel:[0,1] op_sel_hi:[1,0]
	v_pk_mul_f32 v[16:17], v[24:25], v[2:3]
	v_mov_b32_e32 v28, v29
	s_waitcnt lgkmcnt(1)
	v_pk_mul_f32 v[30:31], v[26:27], v[8:9] op_sel:[0,1] op_sel_hi:[1,0]
	v_pk_mul_f32 v[18:19], v[18:19], v[2:3] op_sel:[0,1] op_sel_hi:[1,0]
	v_pk_fma_f32 v[2:3], v[24:25], v[2:3], v[28:29] op_sel:[0,1,0] op_sel_hi:[1,0,1] neg_lo:[0,0,1] neg_hi:[0,0,1]
	v_mov_b32_e32 v28, v27
	v_mov_b32_e32 v30, v31
	v_pk_mul_f32 v[24:25], v[26:27], v[8:9]
	v_pk_mul_f32 v[28:29], v[28:29], v[8:9] op_sel:[0,1] op_sel_hi:[1,0]
	v_pk_fma_f32 v[8:9], v[26:27], v[8:9], v[30:31] op_sel:[0,1,0] op_sel_hi:[1,0,1] neg_lo:[0,0,1] neg_hi:[0,0,1]
	v_pk_mul_f32 v[30:31], v[20:21], v[6:7] op_sel_hi:[1,0]
	v_mov_b32_e32 v26, v7
	v_pk_fma_f32 v[6:7], v[20:21], v[6:7], v[30:31] op_sel:[0,1,1] op_sel_hi:[1,1,0]
	v_pk_fma_f32 v[26:27], v[20:21], v[26:27], v[30:31] op_sel:[0,0,1] op_sel_hi:[1,1,0] neg_lo:[0,0,1] neg_hi:[0,0,1]
	v_mov_b32_e32 v6, v1
	v_pk_mul_f32 v[20:21], v[22:23], v[0:1] op_sel_hi:[1,0]
	v_mov_b32_e32 v27, v7
	v_pk_fma_f32 v[6:7], v[22:23], v[6:7], v[20:21] op_sel:[0,0,1] op_sel_hi:[1,1,0] neg_lo:[0,0,1] neg_hi:[0,0,1]
	v_pk_fma_f32 v[0:1], v[22:23], v[0:1], v[20:21] op_sel:[0,1,1] op_sel_hi:[1,1,0]
	v_pk_mul_f32 v[20:21], v[124:125], v[10:11] op_sel_hi:[1,0]
	v_mov_b32_e32 v0, v11
	v_pk_fma_f32 v[10:11], v[124:125], v[10:11], v[20:21] op_sel:[0,1,1] op_sel_hi:[1,1,0]
	v_mov_b32_e32 v7, v1
	v_pk_fma_f32 v[0:1], v[124:125], v[0:1], v[20:21] op_sel:[0,0,1] op_sel_hi:[1,1,0] neg_lo:[0,0,1] neg_hi:[0,0,1]
	s_waitcnt lgkmcnt(0)
	v_mov_b32_e32 v10, v15
	v_pk_mul_f32 v[20:21], v[126:127], v[14:15] op_sel_hi:[1,0]
	v_mov_b32_e32 v1, v11
	v_pk_fma_f32 v[10:11], v[126:127], v[10:11], v[20:21] op_sel:[0,0,1] op_sel_hi:[1,1,0] neg_lo:[0,0,1] neg_hi:[0,0,1]
	v_pk_fma_f32 v[14:15], v[126:127], v[14:15], v[20:21] op_sel:[0,1,1] op_sel_hi:[1,1,0]
	v_mov_b32_e32 v25, v26
	v_mov_b32_e32 v11, v15
	;; [unrolled: 1-line block ×5, first 2 shown]
	v_pk_add_f32 v[14:15], v[26:27], v[10:11]
	v_pk_add_f32 v[20:21], v[26:27], v[10:11] neg_lo:[0,1] neg_hi:[0,1]
	v_pk_add_f32 v[22:23], v[6:7], v[0:1]
	v_pk_add_f32 v[30:31], v[6:7], v[0:1] neg_lo:[0,1] neg_hi:[0,1]
	v_pk_add_f32 v[10:11], v[24:25], v[28:29]
	v_pk_add_f32 v[0:1], v[16:17], v[18:19]
	v_mov_b32_e32 v9, v10
	v_mov_b32_e32 v3, v0
	v_pk_add_f32 v[6:7], v[8:9], v[2:3] neg_lo:[0,1] neg_hi:[0,1]
	v_mov_b32_e32 v26, v23
	v_mov_b32_e32 v27, v2
	;; [unrolled: 1-line block ×4, first 2 shown]
	v_pk_add_f32 v[2:3], v[26:27], v[2:3]
	v_pk_add_f32 v[8:9], v[0:1], v[10:11]
	v_mov_b32_e32 v16, v6
	v_mov_b32_e32 v17, v21
	;; [unrolled: 1-line block ×6, first 2 shown]
	v_pk_add_f32 v[16:17], v[16:17], v[18:19] neg_lo:[0,1] neg_hi:[0,1]
	v_mov_b32_e32 v18, v20
	v_mov_b32_e32 v24, v6
	;; [unrolled: 1-line block ×3, first 2 shown]
	v_pk_add_f32 v[26:27], v[10:11], v[26:27] neg_lo:[0,1] neg_hi:[0,1]
	v_mov_b32_e32 v28, v15
	v_mov_b32_e32 v29, v3
	;; [unrolled: 1-line block ×3, first 2 shown]
	v_pk_add_f32 v[2:3], v[2:3], v[8:9]
	v_pk_mul_f32 v[16:17], v[16:17], s[16:17]
	v_pk_add_f32 v[18:19], v[18:19], v[24:25] neg_lo:[0,1] neg_hi:[0,1]
	v_pk_add_f32 v[6:7], v[6:7], v[30:31]
	v_pk_add_f32 v[28:29], v[28:29], v[0:1] neg_lo:[0,1] neg_hi:[0,1]
	v_pk_add_f32 v[4:5], v[4:5], v[2:3]
	v_pk_mul_f32 v[8:9], v[26:27], s[22:23]
	v_pk_mul_f32 v[24:25], v[18:19], s[10:11]
	v_pk_add_f32 v[6:7], v[6:7], v[20:21]
	v_pk_mul_f32 v[26:27], v[28:29], s[24:25]
	v_pk_fma_f32 v[2:3], v[2:3], s[20:21], v[4:5] op_sel_hi:[1,0,1] neg_lo:[1,0,0] neg_hi:[1,0,0]
	v_pk_fma_f32 v[28:29], v[28:29], s[24:25], v[8:9]
	v_pk_fma_f32 v[18:19], v[18:19], s[10:11], v[16:17]
	v_pk_add_f32 v[28:29], v[28:29], v[2:3]
	v_pk_fma_f32 v[18:19], v[6:7], s[0:1], v[18:19] op_sel_hi:[1,0,1]
	v_mov_b32_e32 v0, v23
	v_pk_add_f32 v[32:33], v[28:29], v[18:19]
	v_pk_add_f32 v[18:19], v[28:29], v[18:19] neg_lo:[0,1] neg_hi:[0,1]
	v_mov_b32_e32 v28, v32
	v_mov_b32_e32 v29, v19
	;; [unrolled: 1-line block ×3, first 2 shown]
	ds_write2_b64 v56, v[4:5], v[28:29] offset1:119
	v_pk_add_f32 v[4:5], v[30:31], v[20:21] neg_lo:[0,1] neg_hi:[0,1]
	v_pk_add_f32 v[0:1], v[0:1], v[10:11] neg_lo:[0,1] neg_hi:[0,1]
	v_mov_b32_e32 v10, v26
	v_mov_b32_e32 v11, v9
	;; [unrolled: 1-line block ×6, first 2 shown]
	v_pk_fma_f32 v[10:11], v[0:1], s[18:19], v[10:11] op_sel_hi:[1,0,1] neg_lo:[1,0,1] neg_hi:[1,0,1]
	v_pk_fma_f32 v[14:15], v[4:5], s[14:15], v[14:15] op_sel_hi:[1,0,1] neg_lo:[1,0,1] neg_hi:[1,0,1]
	;; [unrolled: 1-line block ×4, first 2 shown]
	v_pk_add_f32 v[10:11], v[10:11], v[2:3]
	v_pk_fma_f32 v[14:15], v[6:7], s[0:1], v[14:15] op_sel_hi:[1,0,1]
	v_pk_add_f32 v[0:1], v[0:1], v[2:3]
	v_pk_fma_f32 v[2:3], v[6:7], s[0:1], v[4:5] op_sel_hi:[1,0,1]
	v_pk_add_f32 v[20:21], v[10:11], v[14:15]
	v_pk_add_f32 v[10:11], v[10:11], v[14:15] neg_lo:[0,1] neg_hi:[0,1]
	v_pk_add_f32 v[4:5], v[0:1], v[2:3] neg_lo:[0,1] neg_hi:[0,1]
	v_pk_add_f32 v[0:1], v[0:1], v[2:3]
	v_mov_b32_e32 v14, v20
	v_mov_b32_e32 v15, v11
	;; [unrolled: 1-line block ×7, first 2 shown]
	ds_write2_b64 v12, v[14:15], v[2:3] offset0:110 offset1:229
	ds_write2_b64 v13, v[0:1], v[10:11] offset0:92 offset1:211
	ds_write_b64 v56, v[18:19] offset:5712
	s_waitcnt lgkmcnt(0)
	s_barrier
	s_and_b64 exec, exec, s[2:3]
	s_cbranch_execz .LBB0_15
; %bb.14:
	global_load_dwordx2 v[0:1], v56, s[8:9]
	ds_read_b64 v[2:3], v56
	v_accvgpr_read_b32 v16, a0
	v_mad_u64_u32 v[6:7], s[0:1], s6, v16, 0
	v_mov_b32_e32 v10, v7
	v_mad_u64_u32 v[10:11], s[2:3], s7, v16, v[10:11]
	v_mov_b32_e32 v4, s12
	v_mov_b32_e32 v5, s13
	;; [unrolled: 1-line block ×3, first 2 shown]
	v_mad_u64_u32 v[8:9], s[2:3], s4, v122, 0
	v_lshl_add_u64 v[4:5], v[6:7], 3, v[4:5]
	s_mov_b32 s0, 0xca869b81
	v_mov_b32_e32 v14, v9
	s_mov_b32 s1, 0x3f53ab2d
	v_mad_u64_u32 v[14:15], s[2:3], s5, v122, v[14:15]
	v_mov_b32_e32 v9, v14
	v_lshl_add_u64 v[4:5], v[8:9], 3, v[4:5]
	v_mov_b32_e32 v10, 0x188
	s_mul_i32 s2, s5, 0x188
	v_mov_b32_e32 v57, 0
	s_movk_i32 s3, 0x1000
	v_add_u32_e32 v11, 0x1000, v56
	s_waitcnt vmcnt(0) lgkmcnt(0)
	v_mul_f32_e32 v6, v3, v1
	v_mul_f32_e32 v1, v2, v1
	v_fmac_f32_e32 v6, v2, v0
	v_fma_f32 v2, v0, v3, -v1
	v_cvt_f64_f32_e32 v[0:1], v6
	v_cvt_f64_f32_e32 v[2:3], v2
	v_mul_f64 v[0:1], v[0:1], s[0:1]
	v_mul_f64 v[2:3], v[2:3], s[0:1]
	v_cvt_f32_f64_e32 v0, v[0:1]
	v_cvt_f32_f64_e32 v1, v[2:3]
	global_store_dwordx2 v[4:5], v[0:1], off
	global_load_dwordx2 v[6:7], v56, s[8:9] offset:392
	ds_read2_b64 v[0:3], v56 offset0:49 offset1:98
	v_mad_u64_u32 v[4:5], s[6:7], s4, v10, v[4:5]
	v_add_u32_e32 v5, s2, v5
	s_waitcnt vmcnt(0) lgkmcnt(0)
	v_mul_f32_e32 v8, v1, v7
	v_mul_f32_e32 v7, v0, v7
	v_fmac_f32_e32 v8, v0, v6
	v_fma_f32 v6, v6, v1, -v7
	v_cvt_f64_f32_e32 v[0:1], v8
	v_cvt_f64_f32_e32 v[6:7], v6
	v_mul_f64 v[0:1], v[0:1], s[0:1]
	v_mul_f64 v[6:7], v[6:7], s[0:1]
	v_cvt_f32_f64_e32 v0, v[0:1]
	v_cvt_f32_f64_e32 v1, v[6:7]
	global_store_dwordx2 v[4:5], v[0:1], off
	global_load_dwordx2 v[0:1], v56, s[8:9] offset:784
	v_mad_u64_u32 v[4:5], s[6:7], s4, v10, v[4:5]
	v_add_u32_e32 v5, s2, v5
	s_waitcnt vmcnt(0)
	v_mul_f32_e32 v6, v3, v1
	v_mul_f32_e32 v1, v2, v1
	v_fmac_f32_e32 v6, v2, v0
	v_fma_f32 v2, v0, v3, -v1
	v_cvt_f64_f32_e32 v[0:1], v6
	v_cvt_f64_f32_e32 v[2:3], v2
	v_mul_f64 v[0:1], v[0:1], s[0:1]
	v_mul_f64 v[2:3], v[2:3], s[0:1]
	v_cvt_f32_f64_e32 v0, v[0:1]
	v_cvt_f32_f64_e32 v1, v[2:3]
	global_store_dwordx2 v[4:5], v[0:1], off
	global_load_dwordx2 v[6:7], v56, s[8:9] offset:1176
	ds_read2_b64 v[0:3], v56 offset0:147 offset1:196
	v_mad_u64_u32 v[4:5], s[6:7], s4, v10, v[4:5]
	v_add_u32_e32 v5, s2, v5
	s_waitcnt vmcnt(0) lgkmcnt(0)
	v_mul_f32_e32 v8, v1, v7
	v_mul_f32_e32 v7, v0, v7
	v_fmac_f32_e32 v8, v0, v6
	v_fma_f32 v6, v6, v1, -v7
	v_cvt_f64_f32_e32 v[0:1], v8
	v_cvt_f64_f32_e32 v[6:7], v6
	v_mul_f64 v[0:1], v[0:1], s[0:1]
	v_mul_f64 v[6:7], v[6:7], s[0:1]
	v_cvt_f32_f64_e32 v0, v[0:1]
	v_cvt_f32_f64_e32 v1, v[6:7]
	global_store_dwordx2 v[4:5], v[0:1], off
	global_load_dwordx2 v[0:1], v56, s[8:9] offset:1568
	v_mad_u64_u32 v[4:5], s[6:7], s4, v10, v[4:5]
	v_add_u32_e32 v5, s2, v5
	s_waitcnt vmcnt(0)
	v_mul_f32_e32 v6, v3, v1
	v_mul_f32_e32 v1, v2, v1
	v_fmac_f32_e32 v6, v2, v0
	v_fma_f32 v2, v0, v3, -v1
	v_cvt_f64_f32_e32 v[0:1], v6
	v_cvt_f64_f32_e32 v[2:3], v2
	v_mul_f64 v[0:1], v[0:1], s[0:1]
	v_mul_f64 v[2:3], v[2:3], s[0:1]
	v_cvt_f32_f64_e32 v0, v[0:1]
	v_cvt_f32_f64_e32 v1, v[2:3]
	global_store_dwordx2 v[4:5], v[0:1], off
	global_load_dwordx2 v[6:7], v56, s[8:9] offset:1960
	ds_read2_b64 v[0:3], v12 offset0:117 offset1:166
	v_mad_u64_u32 v[4:5], s[6:7], s4, v10, v[4:5]
	v_add_u32_e32 v5, s2, v5
	s_waitcnt vmcnt(0) lgkmcnt(0)
	v_mul_f32_e32 v8, v1, v7
	v_mul_f32_e32 v7, v0, v7
	v_fmac_f32_e32 v8, v0, v6
	v_fma_f32 v6, v6, v1, -v7
	v_cvt_f64_f32_e32 v[0:1], v8
	v_cvt_f64_f32_e32 v[6:7], v6
	v_mul_f64 v[0:1], v[0:1], s[0:1]
	v_mul_f64 v[6:7], v[6:7], s[0:1]
	v_cvt_f32_f64_e32 v0, v[0:1]
	v_cvt_f32_f64_e32 v1, v[6:7]
	global_store_dwordx2 v[4:5], v[0:1], off
	global_load_dwordx2 v[0:1], v56, s[8:9] offset:2352
	v_mad_u64_u32 v[4:5], s[6:7], s4, v10, v[4:5]
	v_add_u32_e32 v5, s2, v5
	v_add_u32_e32 v8, 0x800, v56
	s_waitcnt vmcnt(0)
	v_mul_f32_e32 v6, v3, v1
	v_mul_f32_e32 v1, v2, v1
	v_fmac_f32_e32 v6, v2, v0
	v_fma_f32 v2, v0, v3, -v1
	v_cvt_f64_f32_e32 v[0:1], v6
	v_cvt_f64_f32_e32 v[2:3], v2
	v_mul_f64 v[0:1], v[0:1], s[0:1]
	v_mul_f64 v[2:3], v[2:3], s[0:1]
	v_cvt_f32_f64_e32 v0, v[0:1]
	v_cvt_f32_f64_e32 v1, v[2:3]
	global_store_dwordx2 v[4:5], v[0:1], off
	global_load_dwordx2 v[6:7], v56, s[8:9] offset:2744
	ds_read2_b64 v[0:3], v8 offset0:87 offset1:136
	v_mad_u64_u32 v[4:5], s[6:7], s4, v10, v[4:5]
	v_add_u32_e32 v5, s2, v5
	s_waitcnt vmcnt(0) lgkmcnt(0)
	v_mul_f32_e32 v9, v1, v7
	v_mul_f32_e32 v7, v0, v7
	v_fmac_f32_e32 v9, v0, v6
	v_fma_f32 v6, v6, v1, -v7
	v_cvt_f64_f32_e32 v[0:1], v9
	v_cvt_f64_f32_e32 v[6:7], v6
	v_mul_f64 v[0:1], v[0:1], s[0:1]
	v_mul_f64 v[6:7], v[6:7], s[0:1]
	v_cvt_f32_f64_e32 v0, v[0:1]
	v_cvt_f32_f64_e32 v1, v[6:7]
	global_store_dwordx2 v[4:5], v[0:1], off
	global_load_dwordx2 v[0:1], v56, s[8:9] offset:3136
	v_mad_u64_u32 v[4:5], s[6:7], s4, v10, v[4:5]
	v_add_u32_e32 v5, s2, v5
	s_waitcnt vmcnt(0)
	v_mul_f32_e32 v6, v3, v1
	v_mul_f32_e32 v1, v2, v1
	v_fmac_f32_e32 v6, v2, v0
	v_fma_f32 v2, v0, v3, -v1
	v_cvt_f64_f32_e32 v[0:1], v6
	v_cvt_f64_f32_e32 v[2:3], v2
	v_mul_f64 v[0:1], v[0:1], s[0:1]
	v_mul_f64 v[2:3], v[2:3], s[0:1]
	v_cvt_f32_f64_e32 v0, v[0:1]
	v_cvt_f32_f64_e32 v1, v[2:3]
	global_store_dwordx2 v[4:5], v[0:1], off
	global_load_dwordx2 v[6:7], v56, s[8:9] offset:3528
	ds_read2_b64 v[0:3], v8 offset0:185 offset1:234
	v_mad_u64_u32 v[4:5], s[6:7], s4, v10, v[4:5]
	v_add_u32_e32 v5, s2, v5
	s_waitcnt vmcnt(0) lgkmcnt(0)
	v_mul_f32_e32 v8, v1, v7
	v_mul_f32_e32 v7, v0, v7
	v_fmac_f32_e32 v8, v0, v6
	v_fma_f32 v6, v6, v1, -v7
	v_cvt_f64_f32_e32 v[0:1], v8
	v_cvt_f64_f32_e32 v[6:7], v6
	v_mul_f64 v[0:1], v[0:1], s[0:1]
	v_mul_f64 v[6:7], v[6:7], s[0:1]
	v_cvt_f32_f64_e32 v0, v[0:1]
	v_cvt_f32_f64_e32 v1, v[6:7]
	global_store_dwordx2 v[4:5], v[0:1], off
	global_load_dwordx2 v[0:1], v56, s[8:9] offset:3920
	v_lshl_add_u64 v[6:7], s[8:9], 0, v[56:57]
	v_mad_u64_u32 v[4:5], s[6:7], s4, v10, v[4:5]
	v_add_co_u32_e32 v6, vcc, s3, v6
	v_add_u32_e32 v5, s2, v5
	s_nop 0
	v_addc_co_u32_e32 v7, vcc, 0, v7, vcc
	s_waitcnt vmcnt(0)
	v_mul_f32_e32 v8, v3, v1
	v_mul_f32_e32 v1, v2, v1
	v_fmac_f32_e32 v8, v2, v0
	v_fma_f32 v2, v0, v3, -v1
	v_cvt_f64_f32_e32 v[0:1], v8
	v_cvt_f64_f32_e32 v[2:3], v2
	v_mul_f64 v[0:1], v[0:1], s[0:1]
	v_mul_f64 v[2:3], v[2:3], s[0:1]
	v_cvt_f32_f64_e32 v0, v[0:1]
	v_cvt_f32_f64_e32 v1, v[2:3]
	global_store_dwordx2 v[4:5], v[0:1], off
	global_load_dwordx2 v[8:9], v[6:7], off offset:216
	ds_read2_b64 v[0:3], v11 offset0:27 offset1:76
	v_mad_u64_u32 v[4:5], s[6:7], s4, v10, v[4:5]
	v_add_u32_e32 v5, s2, v5
	s_waitcnt vmcnt(0) lgkmcnt(0)
	v_mul_f32_e32 v12, v1, v9
	v_mul_f32_e32 v9, v0, v9
	v_fmac_f32_e32 v12, v0, v8
	v_fma_f32 v8, v8, v1, -v9
	v_cvt_f64_f32_e32 v[0:1], v12
	v_cvt_f64_f32_e32 v[8:9], v8
	v_mul_f64 v[0:1], v[0:1], s[0:1]
	v_mul_f64 v[8:9], v[8:9], s[0:1]
	v_cvt_f32_f64_e32 v0, v[0:1]
	v_cvt_f32_f64_e32 v1, v[8:9]
	global_store_dwordx2 v[4:5], v[0:1], off
	global_load_dwordx2 v[0:1], v[6:7], off offset:608
	v_mad_u64_u32 v[4:5], s[6:7], s4, v10, v[4:5]
	v_add_u32_e32 v5, s2, v5
	s_waitcnt vmcnt(0)
	v_mul_f32_e32 v8, v3, v1
	v_mul_f32_e32 v1, v2, v1
	v_fmac_f32_e32 v8, v2, v0
	v_fma_f32 v2, v0, v3, -v1
	v_cvt_f64_f32_e32 v[0:1], v8
	v_cvt_f64_f32_e32 v[2:3], v2
	v_mul_f64 v[0:1], v[0:1], s[0:1]
	v_mul_f64 v[2:3], v[2:3], s[0:1]
	v_cvt_f32_f64_e32 v0, v[0:1]
	v_cvt_f32_f64_e32 v1, v[2:3]
	global_store_dwordx2 v[4:5], v[0:1], off
	global_load_dwordx2 v[8:9], v[6:7], off offset:1000
	ds_read2_b64 v[0:3], v11 offset0:125 offset1:174
	v_mad_u64_u32 v[4:5], s[6:7], s4, v10, v[4:5]
	v_add_u32_e32 v5, s2, v5
	s_waitcnt vmcnt(0) lgkmcnt(0)
	v_mul_f32_e32 v11, v1, v9
	v_mul_f32_e32 v9, v0, v9
	v_fmac_f32_e32 v11, v0, v8
	v_fma_f32 v8, v8, v1, -v9
	v_cvt_f64_f32_e32 v[0:1], v11
	v_cvt_f64_f32_e32 v[8:9], v8
	v_mul_f64 v[0:1], v[0:1], s[0:1]
	v_mul_f64 v[8:9], v[8:9], s[0:1]
	v_cvt_f32_f64_e32 v0, v[0:1]
	v_cvt_f32_f64_e32 v1, v[8:9]
	global_store_dwordx2 v[4:5], v[0:1], off
	global_load_dwordx2 v[0:1], v[6:7], off offset:1392
	v_mad_u64_u32 v[4:5], s[6:7], s4, v10, v[4:5]
	v_add_u32_e32 v5, s2, v5
	s_waitcnt vmcnt(0)
	v_mul_f32_e32 v8, v3, v1
	v_mul_f32_e32 v1, v2, v1
	v_fmac_f32_e32 v8, v2, v0
	v_fma_f32 v2, v0, v3, -v1
	v_cvt_f64_f32_e32 v[0:1], v8
	v_cvt_f64_f32_e32 v[2:3], v2
	v_mul_f64 v[0:1], v[0:1], s[0:1]
	v_mul_f64 v[2:3], v[2:3], s[0:1]
	v_cvt_f32_f64_e32 v0, v[0:1]
	v_cvt_f32_f64_e32 v1, v[2:3]
	global_store_dwordx2 v[4:5], v[0:1], off
	global_load_dwordx2 v[8:9], v[6:7], off offset:1784
	v_add_u32_e32 v0, 0x1400, v56
	ds_read2_b64 v[0:3], v0 offset0:95 offset1:144
	v_mad_u64_u32 v[4:5], s[6:7], s4, v10, v[4:5]
	v_add_u32_e32 v5, s2, v5
	s_waitcnt vmcnt(0) lgkmcnt(0)
	v_mul_f32_e32 v11, v1, v9
	v_mul_f32_e32 v9, v0, v9
	v_fmac_f32_e32 v11, v0, v8
	v_fma_f32 v8, v8, v1, -v9
	v_cvt_f64_f32_e32 v[0:1], v11
	v_cvt_f64_f32_e32 v[8:9], v8
	v_mul_f64 v[0:1], v[0:1], s[0:1]
	v_mul_f64 v[8:9], v[8:9], s[0:1]
	v_cvt_f32_f64_e32 v0, v[0:1]
	v_cvt_f32_f64_e32 v1, v[8:9]
	global_store_dwordx2 v[4:5], v[0:1], off
	global_load_dwordx2 v[0:1], v[6:7], off offset:2176
	v_mad_u64_u32 v[4:5], s[4:5], s4, v10, v[4:5]
	v_add_u32_e32 v5, s2, v5
	s_waitcnt vmcnt(0)
	v_mul_f32_e32 v6, v3, v1
	v_mul_f32_e32 v1, v2, v1
	v_fmac_f32_e32 v6, v2, v0
	v_fma_f32 v2, v0, v3, -v1
	v_cvt_f64_f32_e32 v[0:1], v6
	v_cvt_f64_f32_e32 v[2:3], v2
	v_mul_f64 v[0:1], v[0:1], s[0:1]
	v_mul_f64 v[2:3], v[2:3], s[0:1]
	v_cvt_f32_f64_e32 v0, v[0:1]
	v_cvt_f32_f64_e32 v1, v[2:3]
	global_store_dwordx2 v[4:5], v[0:1], off
.LBB0_15:
	s_endpgm
	.section	.rodata,"a",@progbits
	.p2align	6, 0x0
	.amdhsa_kernel bluestein_single_fwd_len833_dim1_sp_op_CI_CI
		.amdhsa_group_segment_fixed_size 6664
		.amdhsa_private_segment_fixed_size 0
		.amdhsa_kernarg_size 104
		.amdhsa_user_sgpr_count 2
		.amdhsa_user_sgpr_dispatch_ptr 0
		.amdhsa_user_sgpr_queue_ptr 0
		.amdhsa_user_sgpr_kernarg_segment_ptr 1
		.amdhsa_user_sgpr_dispatch_id 0
		.amdhsa_user_sgpr_kernarg_preload_length 0
		.amdhsa_user_sgpr_kernarg_preload_offset 0
		.amdhsa_user_sgpr_private_segment_size 0
		.amdhsa_uses_dynamic_stack 0
		.amdhsa_enable_private_segment 0
		.amdhsa_system_sgpr_workgroup_id_x 1
		.amdhsa_system_sgpr_workgroup_id_y 0
		.amdhsa_system_sgpr_workgroup_id_z 0
		.amdhsa_system_sgpr_workgroup_info 0
		.amdhsa_system_vgpr_workitem_id 0
		.amdhsa_next_free_vgpr 280
		.amdhsa_next_free_sgpr 60
		.amdhsa_accum_offset 256
		.amdhsa_reserve_vcc 1
		.amdhsa_float_round_mode_32 0
		.amdhsa_float_round_mode_16_64 0
		.amdhsa_float_denorm_mode_32 3
		.amdhsa_float_denorm_mode_16_64 3
		.amdhsa_dx10_clamp 1
		.amdhsa_ieee_mode 1
		.amdhsa_fp16_overflow 0
		.amdhsa_tg_split 0
		.amdhsa_exception_fp_ieee_invalid_op 0
		.amdhsa_exception_fp_denorm_src 0
		.amdhsa_exception_fp_ieee_div_zero 0
		.amdhsa_exception_fp_ieee_overflow 0
		.amdhsa_exception_fp_ieee_underflow 0
		.amdhsa_exception_fp_ieee_inexact 0
		.amdhsa_exception_int_div_zero 0
	.end_amdhsa_kernel
	.text
.Lfunc_end0:
	.size	bluestein_single_fwd_len833_dim1_sp_op_CI_CI, .Lfunc_end0-bluestein_single_fwd_len833_dim1_sp_op_CI_CI
                                        ; -- End function
	.section	.AMDGPU.csdata,"",@progbits
; Kernel info:
; codeLenInByte = 15776
; NumSgprs: 66
; NumVgprs: 256
; NumAgprs: 24
; TotalNumVgprs: 280
; ScratchSize: 0
; MemoryBound: 0
; FloatMode: 240
; IeeeMode: 1
; LDSByteSize: 6664 bytes/workgroup (compile time only)
; SGPRBlocks: 8
; VGPRBlocks: 34
; NumSGPRsForWavesPerEU: 66
; NumVGPRsForWavesPerEU: 280
; AccumOffset: 256
; Occupancy: 1
; WaveLimiterHint : 1
; COMPUTE_PGM_RSRC2:SCRATCH_EN: 0
; COMPUTE_PGM_RSRC2:USER_SGPR: 2
; COMPUTE_PGM_RSRC2:TRAP_HANDLER: 0
; COMPUTE_PGM_RSRC2:TGID_X_EN: 1
; COMPUTE_PGM_RSRC2:TGID_Y_EN: 0
; COMPUTE_PGM_RSRC2:TGID_Z_EN: 0
; COMPUTE_PGM_RSRC2:TIDIG_COMP_CNT: 0
; COMPUTE_PGM_RSRC3_GFX90A:ACCUM_OFFSET: 63
; COMPUTE_PGM_RSRC3_GFX90A:TG_SPLIT: 0
	.text
	.p2alignl 6, 3212836864
	.fill 256, 4, 3212836864
	.type	__hip_cuid_7f5a6efd02bdeeea,@object ; @__hip_cuid_7f5a6efd02bdeeea
	.section	.bss,"aw",@nobits
	.globl	__hip_cuid_7f5a6efd02bdeeea
__hip_cuid_7f5a6efd02bdeeea:
	.byte	0                               ; 0x0
	.size	__hip_cuid_7f5a6efd02bdeeea, 1

	.ident	"AMD clang version 19.0.0git (https://github.com/RadeonOpenCompute/llvm-project roc-6.4.0 25133 c7fe45cf4b819c5991fe208aaa96edf142730f1d)"
	.section	".note.GNU-stack","",@progbits
	.addrsig
	.addrsig_sym __hip_cuid_7f5a6efd02bdeeea
	.amdgpu_metadata
---
amdhsa.kernels:
  - .agpr_count:     24
    .args:
      - .actual_access:  read_only
        .address_space:  global
        .offset:         0
        .size:           8
        .value_kind:     global_buffer
      - .actual_access:  read_only
        .address_space:  global
        .offset:         8
        .size:           8
        .value_kind:     global_buffer
      - .actual_access:  read_only
        .address_space:  global
        .offset:         16
        .size:           8
        .value_kind:     global_buffer
      - .actual_access:  read_only
        .address_space:  global
        .offset:         24
        .size:           8
        .value_kind:     global_buffer
      - .actual_access:  read_only
        .address_space:  global
        .offset:         32
        .size:           8
        .value_kind:     global_buffer
      - .offset:         40
        .size:           8
        .value_kind:     by_value
      - .address_space:  global
        .offset:         48
        .size:           8
        .value_kind:     global_buffer
      - .address_space:  global
        .offset:         56
        .size:           8
        .value_kind:     global_buffer
      - .address_space:  global
        .offset:         64
        .size:           8
        .value_kind:     global_buffer
      - .address_space:  global
        .offset:         72
        .size:           8
        .value_kind:     global_buffer
      - .offset:         80
        .size:           4
        .value_kind:     by_value
      - .address_space:  global
        .offset:         88
        .size:           8
        .value_kind:     global_buffer
      - .address_space:  global
        .offset:         96
        .size:           8
        .value_kind:     global_buffer
    .group_segment_fixed_size: 6664
    .kernarg_segment_align: 8
    .kernarg_segment_size: 104
    .language:       OpenCL C
    .language_version:
      - 2
      - 0
    .max_flat_workgroup_size: 119
    .name:           bluestein_single_fwd_len833_dim1_sp_op_CI_CI
    .private_segment_fixed_size: 0
    .sgpr_count:     66
    .sgpr_spill_count: 0
    .symbol:         bluestein_single_fwd_len833_dim1_sp_op_CI_CI.kd
    .uniform_work_group_size: 1
    .uses_dynamic_stack: false
    .vgpr_count:     280
    .vgpr_spill_count: 0
    .wavefront_size: 64
amdhsa.target:   amdgcn-amd-amdhsa--gfx950
amdhsa.version:
  - 1
  - 2
...

	.end_amdgpu_metadata
